;; amdgpu-corpus repo=ROCm/rocFFT kind=compiled arch=gfx906 opt=O3
	.text
	.amdgcn_target "amdgcn-amd-amdhsa--gfx906"
	.amdhsa_code_object_version 6
	.protected	bluestein_single_back_len3600_dim1_sp_op_CI_CI ; -- Begin function bluestein_single_back_len3600_dim1_sp_op_CI_CI
	.globl	bluestein_single_back_len3600_dim1_sp_op_CI_CI
	.p2align	8
	.type	bluestein_single_back_len3600_dim1_sp_op_CI_CI,@function
bluestein_single_back_len3600_dim1_sp_op_CI_CI: ; @bluestein_single_back_len3600_dim1_sp_op_CI_CI
; %bb.0:
	s_load_dwordx4 s[12:15], s[4:5], 0x28
	s_mov_b64 s[26:27], s[2:3]
	v_mul_u32_u24_e32 v3, 0x223, v0
	s_mov_b64 s[24:25], s[0:1]
	v_add_u32_sdwa v1, s6, v3 dst_sel:DWORD dst_unused:UNUSED_PAD src0_sel:DWORD src1_sel:WORD_1
	v_mov_b32_e32 v2, 0
	s_add_u32 s24, s24, s7
	s_waitcnt lgkmcnt(0)
	v_cmp_gt_u64_e32 vcc, s[12:13], v[1:2]
	s_addc_u32 s25, s25, 0
	s_and_saveexec_b64 s[0:1], vcc
	s_cbranch_execz .LBB0_2
; %bb.1:
	s_load_dwordx4 s[8:11], s[4:5], 0x0
	s_load_dwordx4 s[16:19], s[4:5], 0x18
	s_load_dwordx2 s[12:13], s[4:5], 0x38
	s_movk_i32 s20, 0x78
	v_mul_lo_u16_sdwa v2, v3, s20 dst_sel:DWORD dst_unused:UNUSED_PAD src0_sel:WORD_1 src1_sel:DWORD
	v_sub_u16_e32 v238, v0, v2
	s_waitcnt lgkmcnt(0)
	s_load_dwordx4 s[0:3], s[18:19], 0x0
	v_lshlrev_b32_e32 v247, 3, v238
	v_mov_b32_e32 v35, 0xffff9e80
	v_add_u32_e32 v239, 0x5000, v247
	v_add_u32_e32 v189, 0x1400, v247
	s_waitcnt lgkmcnt(0)
	v_mad_u64_u32 v[4:5], s[4:5], s2, v1, 0
	v_add_u32_e32 v191, 0x2c00, v247
	v_add_u32_e32 v192, 0x4000, v247
	v_mov_b32_e32 v0, v5
	v_mad_u64_u32 v[2:3], s[2:3], s3, v1, v[0:1]
	v_add_u32_e32 v241, 0x4800, v247
                                        ; kill: killed $sgpr8_sgpr9
	v_mov_b32_e32 v5, v2
	buffer_store_dword v4, off, s[24:27], 0 offset:180 ; 4-byte Folded Spill
	s_nop 0
	buffer_store_dword v5, off, s[24:27], 0 offset:184 ; 4-byte Folded Spill
	s_load_dwordx4 s[4:7], s[16:17], 0x0
	global_load_dwordx2 v[248:249], v247, s[8:9]
	s_movk_i32 s16, 0x5000
	s_movk_i32 s17, 0x6000
	s_waitcnt lgkmcnt(0)
	v_mad_u64_u32 v[2:3], s[2:3], s6, v1, 0
	s_mul_hi_u32 s18, s4, 0xb40
	s_mul_i32 s19, s4, 0xb40
	v_mov_b32_e32 v0, v3
	v_mad_u64_u32 v[0:1], s[2:3], s7, v1, v[0:1]
	s_add_u32 s2, s8, 0x7080
	s_addc_u32 s3, s9, 0
	v_mov_b32_e32 v3, v0
	v_mad_u64_u32 v[0:1], s[6:7], s4, v238, 0
	v_mad_u64_u32 v[4:5], s[6:7], s5, v238, v[1:2]
	v_lshlrev_b64 v[2:3], 3, v[2:3]
	s_mul_i32 s6, s5, 0xb40
	v_mov_b32_e32 v1, v4
	v_add_co_u32_e32 v22, vcc, s14, v2
	v_mov_b32_e32 v2, s15
	v_lshlrev_b64 v[0:1], 3, v[0:1]
	v_addc_co_u32_e32 v23, vcc, v2, v3, vcc
	v_add_co_u32_e32 v0, vcc, v22, v0
	v_addc_co_u32_e32 v1, vcc, v23, v1, vcc
	global_load_dwordx2 v[2:3], v[0:1], off
	v_add_co_u32_e32 v18, vcc, s8, v247
	v_mov_b32_e32 v4, s9
	v_addc_co_u32_e32 v19, vcc, 0, v4, vcc
	s_add_i32 s18, s18, s6
	v_add_co_u32_e32 v0, vcc, s19, v0
	s_movk_i32 s6, 0x1000
	s_movk_i32 s7, 0x2000
	;; [unrolled: 1-line block ×4, first 2 shown]
	s_waitcnt vmcnt(0)
	v_mul_f32_e32 v4, v3, v249
	v_fmac_f32_e32 v4, v2, v248
	v_mul_f32_e32 v2, v2, v249
	v_fma_f32 v5, v3, v248, -v2
	v_mov_b32_e32 v2, s18
	v_addc_co_u32_e32 v1, vcc, v1, v2, vcc
	global_load_dwordx2 v[2:3], v[0:1], off
	global_load_dwordx2 v[250:251], v247, s[8:9] offset:2880
	v_add_co_u32_e32 v0, vcc, s19, v0
	s_waitcnt vmcnt(0)
	v_mul_f32_e32 v6, v3, v251
	v_fmac_f32_e32 v6, v2, v250
	v_mul_f32_e32 v2, v2, v251
	v_fma_f32 v7, v3, v250, -v2
	v_mov_b32_e32 v2, s18
	v_addc_co_u32_e32 v1, vcc, v1, v2, vcc
	v_add_co_u32_e32 v12, vcc, s6, v18
	v_addc_co_u32_e32 v13, vcc, 0, v19, vcc
	global_load_dwordx2 v[2:3], v[0:1], off
	global_load_dwordx2 v[252:253], v[12:13], off offset:1664
	ds_write_b64 v247, v[6:7] offset:2880
	v_add_co_u32_e32 v0, vcc, s19, v0
                                        ; kill: killed $vgpr12 killed $vgpr13
	s_waitcnt vmcnt(0)
	v_mul_f32_e32 v6, v3, v253
	v_fmac_f32_e32 v6, v2, v252
	v_mul_f32_e32 v2, v2, v253
	v_fma_f32 v7, v3, v252, -v2
	v_mov_b32_e32 v2, s18
	v_addc_co_u32_e32 v1, vcc, v1, v2, vcc
	v_add_co_u32_e32 v10, vcc, s7, v18
	v_addc_co_u32_e32 v11, vcc, 0, v19, vcc
	global_load_dwordx2 v[2:3], v[0:1], off
	global_load_dwordx2 v[254:255], v[10:11], off offset:448
	ds_write_b64 v247, v[6:7] offset:5760
	v_add_co_u32_e32 v0, vcc, s19, v0
                                        ; kill: killed $vgpr10 killed $vgpr11
	s_waitcnt vmcnt(0)
	v_mul_f32_e32 v6, v3, v255
	v_fmac_f32_e32 v6, v2, v254
	v_mul_f32_e32 v2, v2, v255
	v_fma_f32 v7, v3, v254, -v2
	v_mov_b32_e32 v2, s18
	ds_write_b64 v247, v[6:7] offset:8640
	v_addc_co_u32_e32 v1, vcc, v1, v2, vcc
	global_load_dwordx2 v[2:3], v[0:1], off
	global_load_dwordx2 v[7:8], v[10:11], off offset:3328
	v_add_co_u32_e32 v0, vcc, s19, v0
	s_waitcnt vmcnt(0)
	buffer_store_dword v7, off, s[24:27], 0 offset:288 ; 4-byte Folded Spill
	s_nop 0
	buffer_store_dword v8, off, s[24:27], 0 offset:292 ; 4-byte Folded Spill
	v_mul_f32_e32 v6, v3, v8
	v_fmac_f32_e32 v6, v2, v7
	v_mul_f32_e32 v2, v2, v8
	v_fma_f32 v7, v3, v7, -v2
	v_mov_b32_e32 v2, s18
	v_addc_co_u32_e32 v1, vcc, v1, v2, vcc
	v_add_co_u32_e32 v8, vcc, s14, v18
	v_addc_co_u32_e32 v9, vcc, 0, v19, vcc
	global_load_dwordx2 v[14:15], v[8:9], off offset:2112
	global_load_dwordx2 v[2:3], v[0:1], off
	ds_write_b64 v247, v[6:7] offset:11520
	v_add_co_u32_e32 v0, vcc, s19, v0
                                        ; kill: killed $vgpr8 killed $vgpr9
	s_waitcnt vmcnt(1)
	buffer_store_dword v14, off, s[24:27], 0 offset:280 ; 4-byte Folded Spill
	s_nop 0
	buffer_store_dword v15, off, s[24:27], 0 offset:284 ; 4-byte Folded Spill
	s_waitcnt vmcnt(2)
	v_mul_f32_e32 v6, v3, v15
	v_fmac_f32_e32 v6, v2, v14
	v_mul_f32_e32 v2, v2, v15
	v_fma_f32 v7, v3, v14, -v2
	v_mov_b32_e32 v2, s18
	v_addc_co_u32_e32 v1, vcc, v1, v2, vcc
	ds_write_b64 v247, v[6:7] offset:14400
	v_add_co_u32_e32 v6, vcc, s15, v18
	v_addc_co_u32_e32 v7, vcc, 0, v19, vcc
	global_load_dwordx2 v[15:16], v[6:7], off offset:896
	global_load_dwordx2 v[2:3], v[0:1], off
	v_add_co_u32_e32 v0, vcc, s19, v0
                                        ; kill: killed $vgpr6 killed $vgpr7
	s_waitcnt vmcnt(1)
	buffer_store_dword v15, off, s[24:27], 0 offset:272 ; 4-byte Folded Spill
	s_nop 0
	buffer_store_dword v16, off, s[24:27], 0 offset:276 ; 4-byte Folded Spill
	s_waitcnt vmcnt(2)
	v_mul_f32_e32 v14, v3, v16
	v_fmac_f32_e32 v14, v2, v15
	v_mul_f32_e32 v2, v2, v16
	v_fma_f32 v15, v3, v15, -v2
	v_mov_b32_e32 v2, s18
	ds_write_b64 v247, v[14:15] offset:17280
	v_addc_co_u32_e32 v1, vcc, v1, v2, vcc
	global_load_dwordx2 v[2:3], v[0:1], off
	global_load_dwordx2 v[15:16], v[6:7], off offset:3776
	v_add_co_u32_e32 v0, vcc, s19, v0
	s_waitcnt vmcnt(0)
	buffer_store_dword v15, off, s[24:27], 0 offset:164 ; 4-byte Folded Spill
	s_nop 0
	buffer_store_dword v16, off, s[24:27], 0 offset:168 ; 4-byte Folded Spill
	v_mul_f32_e32 v14, v3, v16
	v_fmac_f32_e32 v14, v2, v15
	v_mul_f32_e32 v2, v2, v16
	v_fma_f32 v15, v3, v15, -v2
	v_mov_b32_e32 v2, s18
	v_addc_co_u32_e32 v1, vcc, v1, v2, vcc
	v_add_co_u32_e32 v2, vcc, s16, v18
	v_addc_co_u32_e32 v3, vcc, 0, v19, vcc
	global_load_dwordx2 v[20:21], v[2:3], off offset:2560
	ds_write_b64 v247, v[14:15] offset:20160
	global_load_dwordx2 v[14:15], v[0:1], off
                                        ; kill: killed $vgpr2 killed $vgpr3
	s_waitcnt vmcnt(1)
	buffer_store_dword v20, off, s[24:27], 0 offset:148 ; 4-byte Folded Spill
	s_nop 0
	buffer_store_dword v21, off, s[24:27], 0 offset:152 ; 4-byte Folded Spill
	s_waitcnt vmcnt(2)
	v_mul_f32_e32 v16, v15, v21
	v_fmac_f32_e32 v16, v14, v20
	v_mul_f32_e32 v14, v14, v21
	v_fma_f32 v17, v15, v20, -v14
	v_add_co_u32_e32 v14, vcc, s19, v0
	v_mov_b32_e32 v0, s18
	v_addc_co_u32_e32 v15, vcc, v1, v0, vcc
	v_add_co_u32_e32 v0, vcc, s17, v18
	v_addc_co_u32_e32 v1, vcc, 0, v19, vcc
	global_load_dwordx2 v[19:20], v[0:1], off offset:1344
	ds_write_b64 v247, v[16:17] offset:23040
	global_load_dwordx2 v[16:17], v[14:15], off
	v_add_co_u32_e32 v32, vcc, s20, v238
                                        ; kill: killed $vgpr0 killed $vgpr1
	s_waitcnt vmcnt(1)
	buffer_store_dword v19, off, s[24:27], 0 offset:92 ; 4-byte Folded Spill
	s_nop 0
	buffer_store_dword v20, off, s[24:27], 0 offset:96 ; 4-byte Folded Spill
	s_waitcnt vmcnt(2)
	v_mul_f32_e32 v18, v17, v20
	v_fmac_f32_e32 v18, v16, v19
	v_mul_f32_e32 v16, v16, v20
	v_fma_f32 v19, v17, v19, -v16
	v_mov_b32_e32 v16, 0xffff9e80
	v_mad_u64_u32 v[14:15], s[20:21], s4, v16, v[14:15]
	s_mul_i32 s20, s5, 0xffff9e80
	s_sub_i32 s20, s20, s4
	ds_write_b64 v247, v[18:19] offset:25920
	v_add_u32_e32 v15, s20, v15
	global_load_dwordx2 v[16:17], v[14:15], off
	global_load_dwordx2 v[19:20], v247, s[8:9] offset:960
	s_waitcnt vmcnt(0)
	buffer_store_dword v19, off, s[24:27], 0 offset:172 ; 4-byte Folded Spill
	s_nop 0
	buffer_store_dword v20, off, s[24:27], 0 offset:176 ; 4-byte Folded Spill
	v_mul_f32_e32 v18, v17, v20
	v_fmac_f32_e32 v18, v16, v19
	v_mul_f32_e32 v16, v16, v20
	v_fma_f32 v19, v17, v19, -v16
	ds_write2_b64 v247, v[4:5], v[18:19] offset1:120
	v_add_co_u32_e32 v4, vcc, s19, v14
	v_mov_b32_e32 v5, s18
	v_addc_co_u32_e32 v5, vcc, v15, v5, vcc
	global_load_dwordx2 v[14:15], v[4:5], off
	global_load_dwordx2 v[16:17], v247, s[8:9] offset:3840
	v_add_co_u32_e32 v4, vcc, s19, v4
	s_waitcnt vmcnt(0)
	buffer_store_dword v16, off, s[24:27], 0 offset:156 ; 4-byte Folded Spill
	s_nop 0
	buffer_store_dword v17, off, s[24:27], 0 offset:160 ; 4-byte Folded Spill
	v_mul_f32_e32 v24, v15, v17
	v_fmac_f32_e32 v24, v14, v16
	v_mul_f32_e32 v14, v14, v17
	v_fma_f32 v25, v15, v16, -v14
	v_mov_b32_e32 v14, s18
	v_addc_co_u32_e32 v5, vcc, v5, v14, vcc
	global_load_dwordx2 v[14:15], v[4:5], off
	global_load_dwordx2 v[16:17], v[12:13], off offset:2624
	v_add_co_u32_e32 v4, vcc, s19, v4
	s_waitcnt vmcnt(0)
	buffer_store_dword v16, off, s[24:27], 0 offset:100 ; 4-byte Folded Spill
	s_nop 0
	buffer_store_dword v17, off, s[24:27], 0 offset:104 ; 4-byte Folded Spill
	v_mul_f32_e32 v26, v15, v17
	v_fmac_f32_e32 v26, v14, v16
	v_mul_f32_e32 v14, v14, v17
	v_fma_f32 v27, v15, v16, -v14
	v_mov_b32_e32 v14, s18
	v_addc_co_u32_e32 v5, vcc, v5, v14, vcc
	global_load_dwordx2 v[14:15], v[4:5], off
	global_load_dwordx2 v[16:17], v[10:11], off offset:1408
	;; [unrolled: 13-line block ×3, first 2 shown]
	s_waitcnt vmcnt(0)
	buffer_store_dword v16, off, s[24:27], 0 offset:32 ; 4-byte Folded Spill
	s_nop 0
	buffer_store_dword v17, off, s[24:27], 0 offset:36 ; 4-byte Folded Spill
	v_mul_f32_e32 v18, v15, v17
	v_fmac_f32_e32 v18, v14, v16
	v_mul_f32_e32 v14, v14, v17
	v_or_b32_e32 v17, 0x780, v238
	v_fma_f32 v19, v15, v16, -v14
	v_mad_u64_u32 v[14:15], s[22:23], s4, v17, 0
	buffer_store_dword v17, off, s[24:27], 0 offset:40 ; 4-byte Folded Spill
	v_mad_u64_u32 v[15:16], s[22:23], s5, v17, v[15:16]
	v_lshlrev_b32_e32 v16, 3, v17
	buffer_store_dword v16, off, s[24:27], 0 offset:268 ; 4-byte Folded Spill
	global_load_dwordx2 v[16:17], v16, s[8:9]
	v_lshlrev_b64 v[14:15], 3, v[14:15]
	s_mulk_i32 s5, 0x1680
	v_add_co_u32_e32 v14, vcc, v22, v14
	v_addc_co_u32_e32 v15, vcc, v23, v15, vcc
	global_load_dwordx2 v[14:15], v[14:15], off
	s_waitcnt vmcnt(1)
	buffer_store_dword v16, off, s[24:27], 0 offset:68 ; 4-byte Folded Spill
	s_nop 0
	buffer_store_dword v17, off, s[24:27], 0 offset:72 ; 4-byte Folded Spill
	s_waitcnt vmcnt(2)
	v_mul_f32_e32 v28, v15, v17
	v_fmac_f32_e32 v28, v14, v16
	v_mul_f32_e32 v14, v14, v17
	v_fma_f32 v29, v15, v16, -v14
	v_mov_b32_e32 v14, 0x1680
	v_mad_u64_u32 v[4:5], s[22:23], s4, v14, v[4:5]
	v_add_u32_e32 v5, s5, v5
	global_load_dwordx2 v[14:15], v[4:5], off
	global_load_dwordx2 v[16:17], v[6:7], off offset:1856
	v_add_co_u32_e32 v4, vcc, s19, v4
	s_waitcnt vmcnt(0)
	buffer_store_dword v16, off, s[24:27], 0 offset:24 ; 4-byte Folded Spill
	s_nop 0
	buffer_store_dword v17, off, s[24:27], 0 offset:28 ; 4-byte Folded Spill
	s_movk_i32 s5, 0xf0
	v_mul_f32_e32 v22, v15, v17
	v_fmac_f32_e32 v22, v14, v16
	v_mul_f32_e32 v14, v14, v17
	v_fma_f32 v23, v15, v16, -v14
	v_mov_b32_e32 v14, s18
	v_addc_co_u32_e32 v5, vcc, v5, v14, vcc
	global_load_dwordx2 v[14:15], v[4:5], off
	global_load_dwordx2 v[30:31], v[2:3], off offset:640
	s_waitcnt vmcnt(0)
	buffer_store_dword v30, off, s[24:27], 0 offset:16 ; 4-byte Folded Spill
	s_nop 0
	buffer_store_dword v31, off, s[24:27], 0 offset:20 ; 4-byte Folded Spill
	v_add_co_u32_e32 v4, vcc, s19, v4
	v_mul_f32_e32 v16, v15, v31
	v_fmac_f32_e32 v16, v14, v30
	v_mul_f32_e32 v14, v14, v31
	v_fma_f32 v17, v15, v30, -v14
	v_mov_b32_e32 v14, s18
	v_addc_co_u32_e32 v5, vcc, v5, v14, vcc
	global_load_dwordx2 v[30:31], v[4:5], off
	global_load_dwordx2 v[33:34], v[2:3], off offset:3520
	s_waitcnt vmcnt(0)
	buffer_store_dword v33, off, s[24:27], 0 offset:8 ; 4-byte Folded Spill
	s_nop 0
	buffer_store_dword v34, off, s[24:27], 0 offset:12 ; 4-byte Folded Spill
	v_mul_f32_e32 v14, v31, v34
	v_fmac_f32_e32 v14, v30, v33
	v_mul_f32_e32 v15, v30, v34
	v_add_co_u32_e32 v30, vcc, s19, v4
	v_mov_b32_e32 v4, s18
	v_fma_f32 v15, v31, v33, -v15
	v_addc_co_u32_e32 v31, vcc, v5, v4, vcc
	global_load_dwordx2 v[33:34], v[30:31], off
	global_load_dwordx2 v[36:37], v[0:1], off offset:2304
	s_waitcnt vmcnt(0)
	buffer_store_dword v36, off, s[24:27], 0 ; 4-byte Folded Spill
	s_nop 0
	buffer_store_dword v37, off, s[24:27], 0 offset:4 ; 4-byte Folded Spill
	v_mul_f32_e32 v4, v34, v37
	v_fmac_f32_e32 v4, v33, v36
	v_mul_f32_e32 v5, v33, v37
	v_add_co_u32_e32 v33, vcc, s5, v238
	v_mad_u64_u32 v[30:31], s[4:5], s4, v35, v[30:31]
	v_fma_f32 v5, v34, v36, -v5
	v_add_u32_e32 v31, s20, v31
	global_load_dwordx2 v[34:35], v[30:31], off
	global_load_dwordx2 v[37:38], v247, s[8:9] offset:1920
	s_waitcnt vmcnt(0)
	buffer_store_dword v37, off, s[24:27], 0 offset:52 ; 4-byte Folded Spill
	s_nop 0
	buffer_store_dword v38, off, s[24:27], 0 offset:56 ; 4-byte Folded Spill
	v_add_co_u32_e32 v30, vcc, s19, v30
	s_movk_i32 s8, 0xcd
	s_movk_i32 s9, 0x48
	v_mul_f32_e32 v36, v35, v38
	v_fmac_f32_e32 v36, v34, v37
	v_mul_f32_e32 v34, v34, v38
	v_fma_f32 v37, v35, v37, -v34
	v_mov_b32_e32 v34, s18
	ds_write_b64 v247, v[36:37] offset:1920
	v_addc_co_u32_e32 v31, vcc, v31, v34, vcc
	global_load_dwordx2 v[34:35], v[30:31], off
	global_load_dwordx2 v[37:38], v[12:13], off offset:704
	s_waitcnt vmcnt(0)
	buffer_store_dword v37, off, s[24:27], 0 offset:44 ; 4-byte Folded Spill
	s_nop 0
	buffer_store_dword v38, off, s[24:27], 0 offset:48 ; 4-byte Folded Spill
	v_mul_f32_e32 v36, v35, v38
	v_fmac_f32_e32 v36, v34, v37
	v_mul_f32_e32 v34, v34, v38
	v_fma_f32 v37, v35, v37, -v34
	v_add_u32_e32 v34, 0xc00, v247
	ds_write2_b64 v34, v[24:25], v[36:37] offset0:96 offset1:216
	v_add_co_u32_e32 v24, vcc, s19, v30
	v_mov_b32_e32 v25, s18
	v_addc_co_u32_e32 v25, vcc, v31, v25, vcc
	v_mov_b32_e32 v63, v34
	global_load_dwordx2 v[30:31], v[24:25], off
	global_load_dwordx2 v[34:35], v[12:13], off offset:3584
	s_waitcnt vmcnt(0)
	buffer_store_dword v34, off, s[24:27], 0 offset:140 ; 4-byte Folded Spill
	s_nop 0
	buffer_store_dword v35, off, s[24:27], 0 offset:144 ; 4-byte Folded Spill
	v_mov_b32_e32 v86, v63
	v_mov_b32_e32 v154, v86
	;; [unrolled: 1-line block ×3, first 2 shown]
	v_mul_f32_e32 v12, v31, v35
	v_mul_f32_e32 v13, v30, v35
	v_fmac_f32_e32 v12, v30, v34
	v_fma_f32 v13, v31, v34, -v13
	v_add_u32_e32 v30, 0x1800, v247
	ds_write2_b64 v30, v[26:27], v[12:13] offset0:72 offset1:192
	v_add_co_u32_e32 v12, vcc, s19, v24
	v_mov_b32_e32 v13, s18
	v_addc_co_u32_e32 v13, vcc, v25, v13, vcc
	global_load_dwordx2 v[24:25], v[12:13], off
	global_load_dwordx2 v[26:27], v[10:11], off offset:2368
	s_waitcnt vmcnt(0)
	buffer_store_dword v26, off, s[24:27], 0 offset:132 ; 4-byte Folded Spill
	s_nop 0
	buffer_store_dword v27, off, s[24:27], 0 offset:136 ; 4-byte Folded Spill
	v_mul_f32_e32 v10, v25, v27
	v_mul_f32_e32 v11, v24, v27
	v_fmac_f32_e32 v10, v24, v26
	v_fma_f32 v11, v25, v26, -v11
	v_add_u32_e32 v24, 0x2400, v247
	ds_write2_b64 v24, v[20:21], v[10:11] offset0:48 offset1:168
	v_add_co_u32_e32 v10, vcc, s19, v12
	v_mov_b32_e32 v11, s18
	v_addc_co_u32_e32 v11, vcc, v13, v11, vcc
	v_mov_b32_e32 v64, v24
	global_load_dwordx2 v[12:13], v[10:11], off
	global_load_dwordx2 v[24:25], v[8:9], off offset:1152
	s_waitcnt vmcnt(0)
	buffer_store_dword v24, off, s[24:27], 0 offset:84 ; 4-byte Folded Spill
	s_nop 0
	buffer_store_dword v25, off, s[24:27], 0 offset:88 ; 4-byte Folded Spill
	v_add_co_u32_e32 v10, vcc, s19, v10
	v_mov_b32_e32 v87, v64
	v_mov_b32_e32 v155, v87
	;; [unrolled: 1-line block ×3, first 2 shown]
	v_mul_f32_e32 v20, v13, v25
	v_fmac_f32_e32 v20, v12, v24
	v_mul_f32_e32 v12, v12, v25
	v_fma_f32 v21, v13, v24, -v12
	v_add_u32_e32 v12, 0x3000, v247
	ds_write2_b64 v12, v[18:19], v[20:21] offset0:24 offset1:144
	v_mov_b32_e32 v12, s18
	v_addc_co_u32_e32 v11, vcc, v11, v12, vcc
	global_load_dwordx2 v[12:13], v[10:11], off
	global_load_dwordx2 v[18:19], v[8:9], off offset:4032
	s_waitcnt vmcnt(0)
	buffer_store_dword v18, off, s[24:27], 0 offset:116 ; 4-byte Folded Spill
	s_nop 0
	buffer_store_dword v19, off, s[24:27], 0 offset:120 ; 4-byte Folded Spill
	v_mul_f32_e32 v8, v13, v19
	v_mul_f32_e32 v9, v12, v19
	v_fmac_f32_e32 v8, v12, v18
	v_fma_f32 v9, v13, v18, -v9
	v_add_u32_e32 v12, 0x3800, v247
	ds_write2_b64 v12, v[28:29], v[8:9] offset0:128 offset1:248
	v_add_co_u32_e32 v8, vcc, s19, v10
	v_mov_b32_e32 v9, s18
	v_addc_co_u32_e32 v9, vcc, v11, v9, vcc
	v_mov_b32_e32 v18, v12
	global_load_dwordx2 v[10:11], v[8:9], off
	global_load_dwordx2 v[12:13], v[6:7], off offset:2816
	s_waitcnt vmcnt(0)
	buffer_store_dword v12, off, s[24:27], 0 offset:108 ; 4-byte Folded Spill
	s_nop 0
	buffer_store_dword v13, off, s[24:27], 0 offset:112 ; 4-byte Folded Spill
	v_mov_b32_e32 v101, v18
	v_mov_b32_e32 v158, v101
	;; [unrolled: 1-line block ×3, first 2 shown]
	v_mul_f32_e32 v6, v11, v13
	v_mul_f32_e32 v7, v10, v13
	v_fmac_f32_e32 v6, v10, v12
	v_fma_f32 v7, v11, v12, -v7
	v_add_u32_e32 v10, 0x4400, v247
	ds_write2_b64 v10, v[22:23], v[6:7] offset0:104 offset1:224
	v_add_co_u32_e32 v6, vcc, s19, v8
	v_mov_b32_e32 v7, s18
	v_addc_co_u32_e32 v7, vcc, v9, v7, vcc
	global_load_dwordx2 v[8:9], v[6:7], off
	global_load_dwordx2 v[10:11], v[2:3], off offset:1600
	s_waitcnt vmcnt(0)
	buffer_store_dword v10, off, s[24:27], 0 offset:124 ; 4-byte Folded Spill
	s_nop 0
	buffer_store_dword v11, off, s[24:27], 0 offset:128 ; 4-byte Folded Spill
	v_mul_f32_e32 v2, v9, v11
	v_mul_f32_e32 v3, v8, v11
	v_fmac_f32_e32 v2, v8, v10
	v_fma_f32 v3, v9, v10, -v3
	ds_write2_b64 v239, v[16:17], v[2:3] offset0:80 offset1:200
	v_add_co_u32_e32 v2, vcc, s19, v6
	v_mov_b32_e32 v3, s18
	v_addc_co_u32_e32 v3, vcc, v7, v3, vcc
	global_load_dwordx2 v[6:7], v[2:3], off
	global_load_dwordx2 v[9:10], v[0:1], off offset:384
	s_waitcnt vmcnt(0)
	buffer_store_dword v9, off, s[24:27], 0 offset:76 ; 4-byte Folded Spill
	s_nop 0
	buffer_store_dword v10, off, s[24:27], 0 offset:80 ; 4-byte Folded Spill
	v_add_co_u32_e32 v2, vcc, s19, v2
	v_mul_f32_e32 v8, v7, v10
	v_fmac_f32_e32 v8, v6, v9
	v_mul_f32_e32 v6, v6, v10
	v_fma_f32 v9, v7, v9, -v6
	v_add_u32_e32 v6, 0x5c00, v247
	ds_write2_b64 v6, v[14:15], v[8:9] offset0:56 offset1:176
	v_mov_b32_e32 v6, s18
	v_addc_co_u32_e32 v3, vcc, v3, v6, vcc
	global_load_dwordx2 v[6:7], v[2:3], off
	global_load_dwordx2 v[8:9], v[0:1], off offset:3264
	s_waitcnt vmcnt(0)
	buffer_store_dword v8, off, s[24:27], 0 offset:188 ; 4-byte Folded Spill
	s_nop 0
	buffer_store_dword v9, off, s[24:27], 0 offset:192 ; 4-byte Folded Spill
                                        ; kill: killed $vgpr2 killed $vgpr3
	v_add_u32_e32 v2, 0x6800, v247
	v_mov_b32_e32 v62, v2
	v_mov_b32_e32 v77, v62
	;; [unrolled: 1-line block ×3, first 2 shown]
	v_mul_f32_e32 v0, v7, v9
	v_mul_f32_e32 v1, v6, v9
	v_fmac_f32_e32 v0, v6, v8
	v_fma_f32 v1, v7, v8, -v1
	ds_write2_b64 v2, v[4:5], v[0:1] offset0:32 offset1:152
	v_add_u32_e32 v4, 0x400, v247
	s_waitcnt vmcnt(0) lgkmcnt(0)
	s_barrier
	ds_read2_b64 v[34:37], v247 offset1:120
	ds_read2_b64 v[0:3], v4 offset0:112 offset1:232
	v_mov_b32_e32 v85, v4
	ds_read2_b64 v[38:41], v189 offset0:80 offset1:200
	v_add_u32_e32 v4, 0x1c00, v247
	ds_read2_b64 v[24:27], v4 offset0:64 offset1:184
	v_mov_b32_e32 v84, v4
	ds_read2_b64 v[42:45], v191 offset0:32 offset1:152
	v_add_u32_e32 v4, 0x3400, v247
	;; [unrolled: 4-line block ×3, first 2 shown]
	ds_read2_b64 v[54:57], v4 offset0:64 offset1:184
	v_mov_b32_e32 v79, v4
	v_add_u32_e32 v4, 0x6000, v247
	ds_read2_b64 v[50:53], v241 offset0:96 offset1:216
	ds_read2_b64 v[58:61], v4 offset0:48 offset1:168
	v_mov_b32_e32 v100, v4
	ds_read2_b64 v[4:7], v63 offset0:96 offset1:216
	ds_read2_b64 v[8:11], v64 offset0:48 offset1:168
	;; [unrolled: 1-line block ×5, first 2 shown]
	s_waitcnt lgkmcnt(12)
	v_add_f32_e32 v62, v34, v38
	s_waitcnt lgkmcnt(10)
	v_add_f32_e32 v62, v62, v42
	;; [unrolled: 2-line block ×4, first 2 shown]
	v_add_f32_e32 v62, v42, v46
	v_fma_f32 v67, -0.5, v62, v34
	v_sub_f32_e32 v62, v39, v55
	v_mov_b32_e32 v68, v67
	v_fmac_f32_e32 v68, 0x3f737871, v62
	v_sub_f32_e32 v63, v43, v47
	v_sub_f32_e32 v64, v38, v42
	;; [unrolled: 1-line block ×3, first 2 shown]
	v_fmac_f32_e32 v67, 0xbf737871, v62
	v_fmac_f32_e32 v68, 0x3f167918, v63
	v_add_f32_e32 v64, v64, v65
	v_fmac_f32_e32 v67, 0xbf167918, v63
	v_fmac_f32_e32 v68, 0x3e9e377a, v64
	;; [unrolled: 1-line block ×3, first 2 shown]
	v_add_f32_e32 v64, v38, v54
	v_fma_f32 v34, -0.5, v64, v34
	v_mov_b32_e32 v69, v34
	v_fmac_f32_e32 v69, 0xbf737871, v63
	v_fmac_f32_e32 v34, 0x3f737871, v63
	v_fmac_f32_e32 v69, 0x3f167918, v62
	v_fmac_f32_e32 v34, 0xbf167918, v62
	v_add_f32_e32 v62, v35, v39
	v_add_f32_e32 v62, v62, v43
	;; [unrolled: 1-line block ×5, first 2 shown]
	v_fma_f32 v75, -0.5, v62, v35
	v_sub_f32_e32 v64, v42, v38
	v_sub_f32_e32 v38, v38, v54
	v_mov_b32_e32 v73, v75
	v_sub_f32_e32 v65, v46, v54
	v_fmac_f32_e32 v73, 0xbf737871, v38
	v_sub_f32_e32 v42, v42, v46
	v_sub_f32_e32 v46, v39, v43
	;; [unrolled: 1-line block ×3, first 2 shown]
	v_fmac_f32_e32 v75, 0x3f737871, v38
	v_fmac_f32_e32 v73, 0xbf167918, v42
	v_add_f32_e32 v46, v46, v54
	v_fmac_f32_e32 v75, 0x3f167918, v42
	v_fmac_f32_e32 v73, 0x3e9e377a, v46
	;; [unrolled: 1-line block ×3, first 2 shown]
	v_add_f32_e32 v46, v39, v55
	v_fma_f32 v35, -0.5, v46, v35
	v_mov_b32_e32 v46, v35
	v_fmac_f32_e32 v46, 0x3f737871, v42
	v_sub_f32_e32 v39, v43, v39
	v_sub_f32_e32 v43, v47, v55
	v_fmac_f32_e32 v35, 0xbf737871, v42
	v_fmac_f32_e32 v46, 0xbf167918, v38
	v_add_f32_e32 v39, v39, v43
	v_fmac_f32_e32 v35, 0x3f167918, v38
	v_fmac_f32_e32 v46, 0x3e9e377a, v39
	;; [unrolled: 1-line block ×3, first 2 shown]
	s_waitcnt lgkmcnt(6)
	v_add_f32_e32 v39, v30, v52
	v_fma_f32 v39, -0.5, v39, v2
	s_waitcnt lgkmcnt(5)
	v_sub_f32_e32 v42, v27, v61
	v_mov_b32_e32 v43, v39
	v_fmac_f32_e32 v43, 0x3f737871, v42
	v_sub_f32_e32 v47, v31, v53
	v_sub_f32_e32 v54, v26, v30
	;; [unrolled: 1-line block ×3, first 2 shown]
	v_fmac_f32_e32 v39, 0xbf737871, v42
	v_fmac_f32_e32 v43, 0x3f167918, v47
	v_add_f32_e32 v54, v54, v55
	v_fmac_f32_e32 v39, 0xbf167918, v47
	v_fmac_f32_e32 v43, 0x3e9e377a, v54
	;; [unrolled: 1-line block ×3, first 2 shown]
	v_add_f32_e32 v54, v26, v60
	v_add_f32_e32 v38, v2, v26
	v_fma_f32 v2, -0.5, v54, v2
	v_mov_b32_e32 v63, v2
	v_fmac_f32_e32 v63, 0xbf737871, v47
	v_fmac_f32_e32 v2, 0x3f737871, v47
	v_add_f32_e32 v47, v31, v53
	v_sub_f32_e32 v54, v30, v26
	v_sub_f32_e32 v55, v52, v60
	v_fma_f32 v47, -0.5, v47, v3
	v_add_f32_e32 v38, v38, v30
	v_fmac_f32_e32 v63, 0x3f167918, v42
	v_add_f32_e32 v54, v54, v55
	v_fmac_f32_e32 v2, 0xbf167918, v42
	v_sub_f32_e32 v26, v26, v60
	v_mov_b32_e32 v55, v47
	v_add_f32_e32 v38, v38, v52
	v_fmac_f32_e32 v63, 0x3e9e377a, v54
	v_fmac_f32_e32 v2, 0x3e9e377a, v54
	;; [unrolled: 1-line block ×3, first 2 shown]
	v_sub_f32_e32 v30, v30, v52
	v_sub_f32_e32 v52, v27, v31
	;; [unrolled: 1-line block ×3, first 2 shown]
	v_fmac_f32_e32 v47, 0x3f737871, v26
	v_fmac_f32_e32 v55, 0xbf167918, v30
	v_add_f32_e32 v52, v52, v54
	v_fmac_f32_e32 v47, 0x3f167918, v30
	v_fmac_f32_e32 v55, 0x3e9e377a, v52
	;; [unrolled: 1-line block ×3, first 2 shown]
	v_add_f32_e32 v52, v27, v61
	v_add_f32_e32 v42, v3, v27
	v_fma_f32 v3, -0.5, v52, v3
	v_add_f32_e32 v64, v64, v65
	v_add_f32_e32 v42, v42, v31
	v_mov_b32_e32 v65, v3
	v_sub_f32_e32 v27, v31, v27
	v_sub_f32_e32 v31, v53, v61
	v_fmac_f32_e32 v3, 0xbf737871, v30
	v_add_f32_e32 v27, v27, v31
	v_fmac_f32_e32 v3, 0x3f167918, v26
	v_fmac_f32_e32 v65, 0x3f737871, v30
	;; [unrolled: 1-line block ×3, first 2 shown]
	v_mul_f32_e32 v30, 0xbe9e377a, v2
	v_fmac_f32_e32 v30, 0x3f737871, v3
	v_mul_f32_e32 v3, 0xbe9e377a, v3
	v_fmac_f32_e32 v65, 0xbf167918, v26
	v_fmac_f32_e32 v3, 0xbf737871, v2
	v_mul_f32_e32 v2, 0xbf4f1bbd, v47
	v_fmac_f32_e32 v65, 0x3e9e377a, v27
	v_mul_f32_e32 v76, 0xbf737871, v63
	;; [unrolled: 2-line block ×3, first 2 shown]
	v_fmac_f32_e32 v76, 0x3e9e377a, v65
	v_add_f32_e32 v65, v75, v2
	v_sub_f32_e32 v75, v75, v2
	v_add_f32_e32 v2, v36, v40
	v_mul_f32_e32 v26, 0x3f4f1bbd, v43
	v_add_f32_e32 v2, v2, v44
	v_fmac_f32_e32 v26, 0x3f167918, v55
	v_add_f32_e32 v2, v2, v48
	v_fmac_f32_e32 v69, 0x3e9e377a, v64
	;; [unrolled: 2-line block ×3, first 2 shown]
	v_sub_f32_e32 v68, v68, v26
	v_add_f32_e32 v26, v2, v56
	v_add_f32_e32 v2, v44, v48
	v_fmac_f32_e32 v34, 0x3e9e377a, v64
	v_add_f32_e32 v38, v38, v60
	v_add_f32_e32 v60, v69, v27
	v_mul_f32_e32 v31, 0xbf4f1bbd, v39
	v_mul_f32_e32 v43, 0xbf167918, v43
	v_sub_f32_e32 v70, v69, v27
	v_fma_f32 v27, -0.5, v2, v36
	v_add_f32_e32 v62, v34, v30
	v_fmac_f32_e32 v31, 0x3f167918, v47
	v_fmac_f32_e32 v43, 0x3f4f1bbd, v55
	v_sub_f32_e32 v72, v34, v30
	v_sub_f32_e32 v2, v41, v57
	v_mov_b32_e32 v30, v27
	v_add_f32_e32 v64, v67, v31
	v_add_f32_e32 v55, v73, v43
	;; [unrolled: 1-line block ×3, first 2 shown]
	v_sub_f32_e32 v74, v67, v31
	v_sub_f32_e32 v69, v73, v43
	;; [unrolled: 1-line block ×3, first 2 shown]
	v_fmac_f32_e32 v30, 0x3f737871, v2
	v_sub_f32_e32 v3, v45, v49
	v_sub_f32_e32 v31, v40, v44
	;; [unrolled: 1-line block ×3, first 2 shown]
	v_fmac_f32_e32 v27, 0xbf737871, v2
	v_fmac_f32_e32 v30, 0x3f167918, v3
	v_add_f32_e32 v31, v31, v34
	v_fmac_f32_e32 v27, 0xbf167918, v3
	v_fmac_f32_e32 v30, 0x3e9e377a, v31
	;; [unrolled: 1-line block ×3, first 2 shown]
	v_add_f32_e32 v31, v40, v56
	v_fma_f32 v31, -0.5, v31, v36
	v_mov_b32_e32 v34, v31
	v_fmac_f32_e32 v34, 0xbf737871, v3
	v_fmac_f32_e32 v31, 0x3f737871, v3
	;; [unrolled: 1-line block ×4, first 2 shown]
	v_add_f32_e32 v2, v37, v41
	v_sub_f32_e32 v35, v44, v40
	v_sub_f32_e32 v36, v48, v56
	v_add_f32_e32 v2, v2, v45
	v_add_f32_e32 v42, v42, v53
	;; [unrolled: 1-line block ×5, first 2 shown]
	v_fmac_f32_e32 v34, 0x3e9e377a, v35
	v_fmac_f32_e32 v31, 0x3e9e377a, v35
	v_add_f32_e32 v35, v2, v57
	v_add_f32_e32 v2, v45, v49
	v_add_f32_e32 v53, v71, v42
	v_add_f32_e32 v61, v46, v76
	v_sub_f32_e32 v67, v71, v42
	v_sub_f32_e32 v71, v46, v76
	v_fma_f32 v76, -0.5, v2, v37
	v_sub_f32_e32 v2, v40, v56
	v_mov_b32_e32 v47, v76
	v_add_f32_e32 v52, v66, v38
	v_sub_f32_e32 v66, v66, v38
	v_fmac_f32_e32 v47, 0xbf737871, v2
	v_sub_f32_e32 v3, v44, v48
	v_sub_f32_e32 v36, v41, v45
	;; [unrolled: 1-line block ×3, first 2 shown]
	v_fmac_f32_e32 v76, 0x3f737871, v2
	v_fmac_f32_e32 v47, 0xbf167918, v3
	v_add_f32_e32 v36, v36, v38
	v_fmac_f32_e32 v76, 0x3f167918, v3
	v_fmac_f32_e32 v47, 0x3e9e377a, v36
	;; [unrolled: 1-line block ×3, first 2 shown]
	v_add_f32_e32 v36, v41, v57
	v_fmac_f32_e32 v37, -0.5, v36
	v_mov_b32_e32 v56, v37
	v_fmac_f32_e32 v56, 0x3f737871, v3
	v_fmac_f32_e32 v37, 0xbf737871, v3
	;; [unrolled: 1-line block ×4, first 2 shown]
	s_waitcnt lgkmcnt(3)
	v_add_f32_e32 v2, v4, v8
	v_sub_f32_e32 v36, v45, v41
	v_sub_f32_e32 v38, v49, v57
	s_waitcnt lgkmcnt(2)
	v_add_f32_e32 v2, v2, v12
	v_add_f32_e32 v36, v36, v38
	s_waitcnt lgkmcnt(1)
	v_add_f32_e32 v2, v2, v16
	v_fmac_f32_e32 v56, 0x3e9e377a, v36
	v_fmac_f32_e32 v37, 0x3e9e377a, v36
	s_waitcnt lgkmcnt(0)
	v_add_f32_e32 v36, v2, v20
	v_add_f32_e32 v2, v12, v16
	v_fma_f32 v43, -0.5, v2, v4
	v_sub_f32_e32 v2, v9, v21
	v_mov_b32_e32 v39, v43
	v_fmac_f32_e32 v39, 0x3f737871, v2
	v_sub_f32_e32 v3, v13, v17
	v_sub_f32_e32 v38, v8, v12
	;; [unrolled: 1-line block ×3, first 2 shown]
	v_fmac_f32_e32 v43, 0xbf737871, v2
	v_fmac_f32_e32 v39, 0x3f167918, v3
	v_add_f32_e32 v38, v38, v40
	v_fmac_f32_e32 v43, 0xbf167918, v3
	v_fmac_f32_e32 v39, 0x3e9e377a, v38
	;; [unrolled: 1-line block ×3, first 2 shown]
	v_add_f32_e32 v38, v8, v20
	v_fma_f32 v41, -0.5, v38, v4
	v_mov_b32_e32 v44, v41
	v_fmac_f32_e32 v44, 0xbf737871, v3
	v_fmac_f32_e32 v41, 0x3f737871, v3
	;; [unrolled: 1-line block ×4, first 2 shown]
	v_add_f32_e32 v2, v5, v9
	v_add_f32_e32 v2, v2, v13
	;; [unrolled: 1-line block ×5, first 2 shown]
	v_sub_f32_e32 v4, v12, v8
	v_sub_f32_e32 v38, v16, v20
	v_fma_f32 v46, -0.5, v2, v5
	v_add_f32_e32 v4, v4, v38
	v_sub_f32_e32 v2, v8, v20
	v_mov_b32_e32 v8, v46
	v_fmac_f32_e32 v44, 0x3e9e377a, v4
	v_fmac_f32_e32 v41, 0x3e9e377a, v4
	;; [unrolled: 1-line block ×3, first 2 shown]
	v_sub_f32_e32 v3, v12, v16
	v_sub_f32_e32 v4, v9, v13
	;; [unrolled: 1-line block ×3, first 2 shown]
	v_fmac_f32_e32 v46, 0x3f737871, v2
	v_fmac_f32_e32 v8, 0xbf167918, v3
	v_add_f32_e32 v4, v4, v12
	v_fmac_f32_e32 v46, 0x3f167918, v3
	v_fmac_f32_e32 v8, 0x3e9e377a, v4
	;; [unrolled: 1-line block ×3, first 2 shown]
	v_add_f32_e32 v4, v9, v21
	v_fma_f32 v12, -0.5, v4, v5
	v_mov_b32_e32 v16, v12
	v_fmac_f32_e32 v16, 0x3f737871, v3
	v_sub_f32_e32 v4, v13, v9
	v_sub_f32_e32 v5, v17, v21
	v_fmac_f32_e32 v16, 0xbf167918, v2
	v_add_f32_e32 v4, v4, v5
	v_mul_f32_e32 v9, 0x3f4f1bbd, v39
	v_mul_f32_e32 v21, 0xbf167918, v39
	v_fmac_f32_e32 v16, 0x3e9e377a, v4
	v_fmac_f32_e32 v9, 0x3f167918, v8
	;; [unrolled: 1-line block ×3, first 2 shown]
	v_mul_f32_e32 v8, 0xbf737871, v44
	v_fmac_f32_e32 v8, 0x3e9e377a, v16
	v_add_f32_e32 v39, v56, v8
	v_sub_f32_e32 v49, v56, v8
	v_add_f32_e32 v8, v0, v24
	v_fmac_f32_e32 v12, 0xbf737871, v3
	v_mul_f32_e32 v20, 0xbf4f1bbd, v43
	v_add_f32_e32 v8, v8, v28
	v_fmac_f32_e32 v12, 0x3f167918, v2
	v_mul_f32_e32 v13, 0x3f737871, v16
	v_fmac_f32_e32 v20, 0x3f167918, v46
	v_add_f32_e32 v8, v8, v50
	v_fmac_f32_e32 v12, 0x3e9e377a, v4
	v_add_f32_e32 v2, v26, v36
	v_fmac_f32_e32 v13, 0x3e9e377a, v44
	v_mul_f32_e32 v17, 0xbe9e377a, v41
	v_add_f32_e32 v42, v27, v20
	v_sub_f32_e32 v44, v26, v36
	v_sub_f32_e32 v36, v27, v20
	v_add_f32_e32 v20, v8, v58
	v_add_f32_e32 v8, v28, v50
	v_fmac_f32_e32 v17, 0x3f737871, v12
	v_add_f32_e32 v5, v47, v21
	v_mul_f32_e32 v12, 0xbe9e377a, v12
	v_sub_f32_e32 v47, v47, v21
	v_fma_f32 v21, -0.5, v8, v0
	v_fmac_f32_e32 v12, 0xbf737871, v41
	v_sub_f32_e32 v8, v25, v59
	v_mov_b32_e32 v26, v21
	v_add_f32_e32 v4, v30, v9
	v_add_f32_e32 v38, v34, v13
	;; [unrolled: 1-line block ×4, first 2 shown]
	v_mul_f32_e32 v16, 0xbf4f1bbd, v46
	v_sub_f32_e32 v46, v30, v9
	v_sub_f32_e32 v48, v34, v13
	;; [unrolled: 1-line block ×4, first 2 shown]
	v_fmac_f32_e32 v26, 0x3f737871, v8
	v_sub_f32_e32 v9, v29, v51
	v_sub_f32_e32 v12, v24, v28
	;; [unrolled: 1-line block ×3, first 2 shown]
	v_fmac_f32_e32 v21, 0xbf737871, v8
	v_fmac_f32_e32 v26, 0x3f167918, v9
	v_add_f32_e32 v12, v12, v13
	v_fmac_f32_e32 v21, 0xbf167918, v9
	v_fmac_f32_e32 v26, 0x3e9e377a, v12
	;; [unrolled: 1-line block ×3, first 2 shown]
	v_add_f32_e32 v12, v24, v58
	v_fma_f32 v0, -0.5, v12, v0
	v_mov_b32_e32 v27, v0
	v_fmac_f32_e32 v27, 0xbf737871, v9
	v_fmac_f32_e32 v0, 0x3f737871, v9
	v_fmac_f32_e32 v27, 0x3f167918, v8
	v_fmac_f32_e32 v0, 0xbf167918, v8
	v_add_f32_e32 v8, v1, v25
	v_add_f32_e32 v8, v8, v29
	;; [unrolled: 1-line block ×6, first 2 shown]
	v_sub_f32_e32 v34, v31, v17
	v_sub_f32_e32 v12, v28, v24
	;; [unrolled: 1-line block ×3, first 2 shown]
	v_fma_f32 v31, -0.5, v8, v1
	v_add_f32_e32 v12, v12, v13
	v_sub_f32_e32 v8, v24, v58
	v_mov_b32_e32 v56, v31
	v_fmac_f32_e32 v27, 0x3e9e377a, v12
	v_fmac_f32_e32 v0, 0x3e9e377a, v12
	;; [unrolled: 1-line block ×3, first 2 shown]
	v_sub_f32_e32 v9, v28, v50
	v_sub_f32_e32 v12, v25, v29
	;; [unrolled: 1-line block ×3, first 2 shown]
	v_fmac_f32_e32 v31, 0x3f737871, v8
	v_fmac_f32_e32 v56, 0xbf167918, v9
	v_add_f32_e32 v12, v12, v13
	v_fmac_f32_e32 v31, 0x3f167918, v9
	v_fmac_f32_e32 v56, 0x3e9e377a, v12
	;; [unrolled: 1-line block ×3, first 2 shown]
	v_add_f32_e32 v12, v25, v59
	v_fmac_f32_e32 v1, -0.5, v12
	v_mov_b32_e32 v28, v1
	v_fmac_f32_e32 v28, 0x3f737871, v9
	v_fmac_f32_e32 v1, 0xbf737871, v9
	;; [unrolled: 1-line block ×4, first 2 shown]
	v_add_f32_e32 v8, v6, v10
	v_add_f32_e32 v8, v8, v14
	;; [unrolled: 1-line block ×5, first 2 shown]
	v_sub_f32_e32 v12, v29, v25
	v_sub_f32_e32 v13, v51, v59
	v_fma_f32 v17, -0.5, v8, v6
	v_fmac_f32_e32 v16, 0xbf167918, v43
	v_add_f32_e32 v12, v12, v13
	v_sub_f32_e32 v8, v11, v23
	v_mov_b32_e32 v13, v17
	v_add_f32_e32 v43, v76, v16
	v_sub_f32_e32 v37, v76, v16
	v_fmac_f32_e32 v28, 0x3e9e377a, v12
	v_fmac_f32_e32 v1, 0x3e9e377a, v12
	;; [unrolled: 1-line block ×3, first 2 shown]
	v_sub_f32_e32 v9, v15, v19
	v_sub_f32_e32 v12, v10, v14
	;; [unrolled: 1-line block ×3, first 2 shown]
	v_fmac_f32_e32 v17, 0xbf737871, v8
	v_fmac_f32_e32 v13, 0x3f167918, v9
	v_add_f32_e32 v12, v12, v16
	v_fmac_f32_e32 v17, 0xbf167918, v9
	v_fmac_f32_e32 v13, 0x3e9e377a, v12
	;; [unrolled: 1-line block ×3, first 2 shown]
	v_add_f32_e32 v12, v10, v22
	v_fma_f32 v6, -0.5, v12, v6
	v_mov_b32_e32 v25, v6
	v_fmac_f32_e32 v25, 0xbf737871, v9
	v_fmac_f32_e32 v6, 0x3f737871, v9
	v_fmac_f32_e32 v25, 0x3f167918, v8
	v_fmac_f32_e32 v6, 0xbf167918, v8
	v_add_f32_e32 v8, v7, v11
	v_add_f32_e32 v8, v8, v15
	;; [unrolled: 1-line block ×5, first 2 shown]
	v_sub_f32_e32 v12, v14, v10
	v_sub_f32_e32 v16, v18, v22
	v_fma_f32 v50, -0.5, v8, v7
	v_add_f32_e32 v12, v12, v16
	v_sub_f32_e32 v8, v10, v22
	v_mov_b32_e32 v22, v50
	v_fmac_f32_e32 v25, 0x3e9e377a, v12
	v_fmac_f32_e32 v6, 0x3e9e377a, v12
	;; [unrolled: 1-line block ×3, first 2 shown]
	v_sub_f32_e32 v9, v14, v18
	v_sub_f32_e32 v10, v11, v15
	;; [unrolled: 1-line block ×3, first 2 shown]
	v_fmac_f32_e32 v50, 0x3f737871, v8
	v_fmac_f32_e32 v22, 0xbf167918, v9
	v_add_f32_e32 v10, v10, v12
	v_fmac_f32_e32 v50, 0x3f167918, v9
	v_fmac_f32_e32 v22, 0x3e9e377a, v10
	;; [unrolled: 1-line block ×3, first 2 shown]
	v_add_f32_e32 v10, v11, v23
	v_fmac_f32_e32 v7, -0.5, v10
	v_mov_b32_e32 v18, v7
	v_fmac_f32_e32 v18, 0x3f737871, v9
	v_sub_f32_e32 v10, v15, v11
	v_sub_f32_e32 v11, v19, v23
	v_fmac_f32_e32 v18, 0xbf167918, v8
	v_add_f32_e32 v10, v10, v11
	v_fmac_f32_e32 v7, 0xbf737871, v9
	v_fmac_f32_e32 v18, 0x3e9e377a, v10
	;; [unrolled: 1-line block ×4, first 2 shown]
	v_mul_f32_e32 v23, 0x3f737871, v18
	v_mul_f32_e32 v51, 0xbe9e377a, v6
	v_fmac_f32_e32 v23, 0x3e9e377a, v25
	v_fmac_f32_e32 v51, 0x3f737871, v7
	v_mul_f32_e32 v25, 0xbf737871, v25
	v_add_f32_e32 v8, v20, v24
	v_add_f32_e32 v14, v0, v51
	v_fmac_f32_e32 v25, 0x3e9e377a, v18
	v_sub_f32_e32 v18, v20, v24
	v_sub_f32_e32 v24, v0, v51
	v_mul_lo_u16_e32 v0, 10, v238
	v_mul_f32_e32 v19, 0x3f4f1bbd, v13
	v_mul_f32_e32 v58, 0xbf167918, v13
	v_mul_f32_e32 v7, 0xbe9e377a, v7
	v_lshlrev_b32_e32 v244, 3, v0
	v_mul_u32_u24_e32 v0, 10, v32
	v_fmac_f32_e32 v19, 0x3f167918, v22
	v_mul_f32_e32 v57, 0xbf4f1bbd, v17
	v_fmac_f32_e32 v58, 0x3f4f1bbd, v22
	v_fmac_f32_e32 v7, 0xbf737871, v6
	v_mul_f32_e32 v6, 0xbf4f1bbd, v50
	v_lshlrev_b32_e32 v246, 3, v0
	v_mul_u32_u24_e32 v0, 10, v33
	v_add_f32_e32 v10, v26, v19
	v_add_f32_e32 v12, v27, v23
	v_fmac_f32_e32 v57, 0x3f167918, v50
	v_add_f32_e32 v9, v30, v29
	v_add_f32_e32 v11, v56, v58
	v_fmac_f32_e32 v6, 0xbf167918, v17
	v_lshlrev_b32_e32 v243, 3, v0
	v_add_f32_e32 v16, v21, v57
	v_add_f32_e32 v13, v28, v25
	;; [unrolled: 1-line block ×4, first 2 shown]
	v_sub_f32_e32 v20, v26, v19
	v_sub_f32_e32 v22, v27, v23
	;; [unrolled: 1-line block ×8, first 2 shown]
	s_barrier
	ds_write_b128 v244, v[52:55]
	ds_write_b128 v244, v[60:63] offset:16
	ds_write_b128 v244, v[64:67] offset:32
	ds_write_b128 v244, v[68:71] offset:48
	ds_write_b128 v244, v[72:75] offset:64
	ds_write_b128 v246, v[2:5]
	ds_write_b128 v246, v[38:41] offset:16
	ds_write_b128 v246, v[42:45] offset:32
	ds_write_b128 v246, v[46:49] offset:48
	ds_write_b128 v246, v[34:37] offset:64
	;; [unrolled: 5-line block ×3, first 2 shown]
	v_mul_lo_u16_sdwa v12, v238, s8 dst_sel:DWORD dst_unused:UNUSED_PAD src0_sel:BYTE_0 src1_sel:DWORD
	v_lshrrev_b16_e32 v12, 11, v12
	v_mul_lo_u16_e32 v13, 10, v12
	v_sub_u16_e32 v13, v238, v13
	v_mov_b32_e32 v15, s11
	v_and_b32_e32 v13, 0xff, v13
	v_mov_b32_e32 v14, s10
	v_mad_u64_u32 v[24:25], s[4:5], v13, s9, v[14:15]
	s_waitcnt lgkmcnt(0)
	s_barrier
	ds_read2_b64 v[4:7], v247 offset1:120
	ds_read2_b64 v[0:3], v85 offset0:112 offset1:232
	v_mov_b32_e32 v153, v85
	ds_read2_b64 v[16:19], v189 offset0:80 offset1:200
	ds_read2_b64 v[20:23], v84 offset0:64 offset1:184
	v_mov_b32_e32 v151, v84
	ds_read2_b64 v[34:37], v191 offset0:32 offset1:152
	;; [unrolled: 3-line block ×3, first 2 shown]
	ds_read2_b64 v[96:99], v241 offset0:96 offset1:216
	ds_read2_b64 v[92:95], v79 offset0:64 offset1:184
	v_mov_b32_e32 v240, v79
	ds_read2_b64 v[128:131], v100 offset0:48 offset1:168
	ds_read2_b64 v[132:135], v86 offset0:96 offset1:216
	;; [unrolled: 1-line block ×6, first 2 shown]
	global_load_dwordx4 v[72:75], v[24:25], off offset:48
	global_load_dwordx4 v[76:79], v[24:25], off offset:32
	;; [unrolled: 1-line block ×3, first 2 shown]
	global_load_dwordx4 v[84:87], v[24:25], off
	global_load_dwordx2 v[214:215], v[24:25], off offset:64
	v_mov_b32_e32 v156, v100
	v_mul_u32_u24_e32 v12, 0x64, v12
	v_add_lshl_u32 v12, v12, v13, 3
	v_mov_b32_e32 v187, v156
	v_mov_b32_e32 v185, v151
	;; [unrolled: 1-line block ×4, first 2 shown]
	s_waitcnt vmcnt(4) lgkmcnt(6)
	v_mul_f32_e32 v65, v92, v75
	s_waitcnt vmcnt(3)
	v_mul_f32_e32 v63, v55, v79
	s_waitcnt vmcnt(2)
	;; [unrolled: 2-line block ×3, first 2 shown]
	v_mul_f32_e32 v26, v3, v85
	v_fma_f32 v27, v2, v84, -v26
	v_mul_f32_e32 v28, v2, v85
	v_mul_f32_e32 v2, v17, v87
	v_fma_f32 v64, v16, v86, -v2
	v_mul_f32_e32 v2, v23, v81
	v_fma_f32 v48, v22, v80, -v2
	;; [unrolled: 2-line block ×7, first 2 shown]
	s_waitcnt vmcnt(0) lgkmcnt(5)
	v_mul_f32_e32 v2, v131, v215
	v_fma_f32 v60, v130, v214, -v2
	v_mul_lo_u16_sdwa v2, v32, s8 dst_sel:DWORD dst_unused:UNUSED_PAD src0_sel:BYTE_0 src1_sel:DWORD
	v_lshrrev_b16_e32 v2, 11, v2
	v_fmac_f32_e32 v28, v3, v84
	v_mul_lo_u16_e32 v3, 10, v2
	v_sub_u16_e32 v3, v32, v3
	v_and_b32_e32 v3, 0xff, v3
	v_mad_u64_u32 v[14:15], s[4:5], v3, s9, v[14:15]
	global_load_dwordx4 v[108:111], v[14:15], off offset:48
	global_load_dwordx4 v[112:115], v[14:15], off offset:32
	;; [unrolled: 1-line block ×3, first 2 shown]
	global_load_dwordx4 v[124:127], v[14:15], off
	global_load_dwordx2 v[210:211], v[14:15], off offset:64
	s_mov_b32 s4, 0xcccd
	v_mul_f32_e32 v62, v34, v83
	v_mov_b32_e32 v34, s11
	v_fmac_f32_e32 v65, v93, v74
	v_mul_f32_e32 v59, v16, v87
	v_fmac_f32_e32 v59, v17, v86
	v_fmac_f32_e32 v62, v35, v82
	v_mul_f32_e32 v42, v90, v77
	v_fmac_f32_e32 v63, v56, v78
	v_fmac_f32_e32 v42, v91, v76
	v_sub_f32_e32 v90, v64, v66
	v_sub_f32_e32 v91, v68, v67
	v_add_f32_e32 v90, v90, v91
	v_mul_f32_e32 v45, v98, v73
	v_mul_f32_e32 v56, v130, v215
	v_fmac_f32_e32 v40, v23, v80
	v_fmac_f32_e32 v56, v131, v214
	;; [unrolled: 1-line block ×3, first 2 shown]
	v_mul_u32_u24_e32 v2, 0x64, v2
	v_add_lshl_u32 v2, v2, v3, 3
	s_waitcnt vmcnt(4)
	v_mul_f32_e32 v53, v94, v111
	s_waitcnt vmcnt(3)
	v_mul_f32_e32 v50, v57, v115
	v_fmac_f32_e32 v50, v58, v114
	s_waitcnt vmcnt(1)
	v_mul_f32_e32 v22, v19, v127
	v_fma_f32 v52, v18, v126, -v22
	v_mul_f32_e32 v44, v18, v127
	s_waitcnt lgkmcnt(3)
	v_mul_f32_e32 v18, v137, v121
	v_fma_f32 v29, v136, v120, -v18
	v_mul_f32_e32 v18, v37, v123
	v_fma_f32 v54, v36, v122, -v18
	s_waitcnt lgkmcnt(2)
	v_mul_f32_e32 v18, v141, v113
	s_waitcnt vmcnt(0) lgkmcnt(0)
	v_mul_f32_e32 v14, v9, v211
	v_fma_f32 v30, v140, v112, -v18
	v_mul_f32_e32 v18, v58, v115
	v_fma_f32 v61, v8, v210, -v14
	v_mul_f32_e32 v58, v8, v211
	v_mul_u32_u24_sdwa v8, v33, s4 dst_sel:DWORD dst_unused:UNUSED_PAD src0_sel:WORD_0 src1_sel:DWORD
	v_lshrrev_b32_e32 v8, 19, v8
	v_fmac_f32_e32 v58, v9, v210
	v_mul_lo_u16_e32 v9, 10, v8
	v_sub_u16_e32 v9, v33, v9
	v_mul_lo_u16_e32 v14, 0x48, v9
	v_fma_f32 v55, v57, v114, -v18
	v_mul_f32_e32 v18, v145, v109
	v_add_co_u32_e32 v69, vcc, s10, v14
	v_fma_f32 v31, v144, v108, -v18
	v_mul_f32_e32 v18, v95, v111
	v_addc_co_u32_e32 v70, vcc, 0, v34, vcc
	v_fma_f32 v57, v94, v110, -v18
	v_fmac_f32_e32 v53, v95, v110
	global_load_dwordx4 v[92:95], v[69:70], off offset:48
	global_load_dwordx4 v[100:103], v[69:70], off offset:32
	global_load_dwordx4 v[104:107], v[69:70], off offset:16
	global_load_dwordx4 v[116:119], v[69:70], off
	global_load_dwordx2 v[208:209], v[69:70], off offset:64
	v_add_f32_e32 v70, v66, v67
	v_fmac_f32_e32 v44, v19, v126
	v_fma_f32 v71, -0.5, v70, v4
	v_mul_f32_e32 v46, v36, v123
	v_sub_f32_e32 v70, v59, v65
	v_fmac_f32_e32 v46, v37, v122
	v_mul_f32_e32 v16, v133, v125
	v_fma_f32 v16, v132, v124, -v16
	v_mul_f32_e32 v24, v136, v121
	v_fmac_f32_e32 v24, v137, v120
	v_mul_f32_e32 v25, v140, v113
	v_mul_f32_e32 v26, v144, v109
	v_fmac_f32_e32 v25, v141, v112
	v_fmac_f32_e32 v26, v145, v108
	v_mul_f32_e32 v17, v132, v125
	v_fmac_f32_e32 v17, v133, v124
	s_movk_i32 s4, 0x64
	s_waitcnt vmcnt(0)
	s_barrier
	buffer_store_dword v12, off, s[24:27], 0 offset:204 ; 4-byte Folded Spill
	v_cmp_gt_u16_e32 vcc, s4, v238
	v_mul_f32_e32 v39, v129, v95
	v_mul_f32_e32 v37, v96, v103
	;; [unrolled: 1-line block ×3, first 2 shown]
	v_fma_f32 v41, v88, v106, -v19
	v_mul_f32_e32 v36, v88, v107
	v_mov_b32_e32 v88, v71
	v_fmac_f32_e32 v36, v89, v106
	v_fmac_f32_e32 v88, 0x3f737871, v70
	v_sub_f32_e32 v89, v62, v63
	v_fmac_f32_e32 v71, 0xbf737871, v70
	v_fmac_f32_e32 v88, 0x3f167918, v89
	;; [unrolled: 1-line block ×5, first 2 shown]
	v_add_f32_e32 v90, v64, v68
	v_mul_f32_e32 v18, v21, v119
	v_mul_f32_e32 v69, v11, v209
	v_fma_f32 v90, -0.5, v90, v4
	v_fma_f32 v38, v20, v118, -v18
	v_mul_f32_e32 v35, v20, v119
	v_mul_f32_e32 v20, v97, v103
	v_fma_f32 v69, v10, v208, -v69
	v_mul_f32_e32 v10, v10, v209
	v_mov_b32_e32 v91, v90
	v_fma_f32 v43, v96, v102, -v20
	v_fmac_f32_e32 v10, v11, v208
	v_add_f32_e32 v11, v4, v64
	v_fmac_f32_e32 v91, 0xbf737871, v89
	v_sub_f32_e32 v4, v66, v64
	v_sub_f32_e32 v96, v67, v68
	v_fmac_f32_e32 v90, 0x3f737871, v89
	v_fmac_f32_e32 v91, 0x3f167918, v70
	v_add_f32_e32 v4, v4, v96
	v_fmac_f32_e32 v90, 0xbf167918, v70
	v_fmac_f32_e32 v91, 0x3e9e377a, v4
	;; [unrolled: 1-line block ×3, first 2 shown]
	v_add_f32_e32 v4, v5, v59
	v_add_f32_e32 v4, v4, v62
	;; [unrolled: 1-line block ×7, first 2 shown]
	v_fma_f32 v96, -0.5, v4, v5
	v_add_f32_e32 v11, v11, v68
	v_sub_f32_e32 v4, v64, v68
	v_mov_b32_e32 v68, v96
	v_fmac_f32_e32 v68, 0xbf737871, v4
	v_sub_f32_e32 v64, v66, v67
	v_sub_f32_e32 v66, v59, v62
	;; [unrolled: 1-line block ×3, first 2 shown]
	v_fmac_f32_e32 v96, 0x3f737871, v4
	v_fmac_f32_e32 v68, 0xbf167918, v64
	v_add_f32_e32 v66, v66, v67
	v_fmac_f32_e32 v96, 0x3f167918, v64
	v_fmac_f32_e32 v68, 0x3e9e377a, v66
	;; [unrolled: 1-line block ×3, first 2 shown]
	v_add_f32_e32 v66, v59, v65
	v_fmac_f32_e32 v37, v97, v102
	v_fma_f32 v97, -0.5, v66, v5
	v_mov_b32_e32 v98, v97
	v_fmac_f32_e32 v98, 0x3f737871, v64
	v_fmac_f32_e32 v97, 0xbf737871, v64
	;; [unrolled: 1-line block ×4, first 2 shown]
	v_add_f32_e32 v4, v27, v48
	v_add_f32_e32 v4, v4, v49
	;; [unrolled: 1-line block ×5, first 2 shown]
	v_sub_f32_e32 v5, v62, v59
	v_sub_f32_e32 v59, v63, v65
	v_fma_f32 v65, -0.5, v4, v27
	v_add_f32_e32 v5, v5, v59
	v_sub_f32_e32 v4, v40, v56
	v_mov_b32_e32 v63, v65
	v_fmac_f32_e32 v98, 0x3e9e377a, v5
	v_fmac_f32_e32 v97, 0x3e9e377a, v5
	;; [unrolled: 1-line block ×3, first 2 shown]
	v_sub_f32_e32 v5, v42, v45
	v_sub_f32_e32 v59, v48, v49
	;; [unrolled: 1-line block ×3, first 2 shown]
	v_fmac_f32_e32 v65, 0xbf737871, v4
	v_fmac_f32_e32 v63, 0x3f167918, v5
	v_add_f32_e32 v59, v59, v62
	v_fmac_f32_e32 v65, 0xbf167918, v5
	v_fmac_f32_e32 v63, 0x3e9e377a, v59
	;; [unrolled: 1-line block ×3, first 2 shown]
	v_add_f32_e32 v59, v48, v60
	v_fmac_f32_e32 v27, -0.5, v59
	v_mov_b32_e32 v67, v27
	v_fmac_f32_e32 v67, 0xbf737871, v5
	v_fmac_f32_e32 v27, 0x3f737871, v5
	;; [unrolled: 1-line block ×4, first 2 shown]
	v_add_f32_e32 v4, v28, v40
	v_add_f32_e32 v4, v4, v42
	;; [unrolled: 1-line block ×5, first 2 shown]
	v_fma_f32 v70, -0.5, v4, v28
	v_sub_f32_e32 v62, v51, v60
	v_sub_f32_e32 v4, v48, v60
	v_mov_b32_e32 v60, v70
	v_sub_f32_e32 v59, v49, v48
	v_fmac_f32_e32 v60, 0xbf737871, v4
	v_sub_f32_e32 v5, v49, v51
	v_sub_f32_e32 v48, v40, v42
	;; [unrolled: 1-line block ×3, first 2 shown]
	v_fmac_f32_e32 v70, 0x3f737871, v4
	v_fmac_f32_e32 v60, 0xbf167918, v5
	v_add_f32_e32 v48, v48, v49
	v_fmac_f32_e32 v70, 0x3f167918, v5
	v_fmac_f32_e32 v60, 0x3e9e377a, v48
	;; [unrolled: 1-line block ×3, first 2 shown]
	v_add_f32_e32 v48, v40, v56
	v_fmac_f32_e32 v28, -0.5, v48
	v_mov_b32_e32 v51, v28
	v_add_f32_e32 v59, v59, v62
	v_fmac_f32_e32 v51, 0x3f737871, v5
	v_sub_f32_e32 v40, v42, v40
	v_sub_f32_e32 v42, v45, v56
	v_fmac_f32_e32 v28, 0xbf737871, v5
	v_fma_f32 v47, v128, v94, -v39
	v_mul_f32_e32 v39, v128, v95
	v_fmac_f32_e32 v67, 0x3e9e377a, v59
	v_fmac_f32_e32 v51, 0xbf167918, v4
	v_add_f32_e32 v40, v40, v42
	v_fmac_f32_e32 v28, 0x3f167918, v4
	v_fmac_f32_e32 v39, v129, v94
	;; [unrolled: 1-line block ×4, first 2 shown]
	v_mul_f32_e32 v40, 0x3f167918, v60
	v_mul_f32_e32 v129, 0xbf737871, v67
	v_fmac_f32_e32 v27, 0x3e9e377a, v59
	v_fmac_f32_e32 v40, 0x3f4f1bbd, v63
	v_mul_f32_e32 v42, 0x3f737871, v51
	v_fmac_f32_e32 v129, 0x3e9e377a, v51
	v_mul_f32_e32 v51, 0xbe9e377a, v28
	v_add_f32_e32 v4, v11, v66
	v_add_f32_e32 v48, v88, v40
	v_mul_f32_e32 v45, 0xbe9e377a, v27
	v_mul_f32_e32 v56, 0xbf4f1bbd, v65
	v_fmac_f32_e32 v51, 0xbf737871, v27
	v_sub_f32_e32 v27, v11, v66
	v_sub_f32_e32 v66, v88, v40
	v_add_f32_e32 v40, v54, v55
	v_fmac_f32_e32 v42, 0x3e9e377a, v67
	v_fmac_f32_e32 v45, 0x3f737871, v28
	;; [unrolled: 1-line block ×3, first 2 shown]
	v_mul_f32_e32 v128, 0xbf167918, v63
	v_fma_f32 v40, -0.5, v40, v6
	v_add_f32_e32 v59, v91, v42
	v_add_f32_e32 v62, v90, v45
	;; [unrolled: 1-line block ×3, first 2 shown]
	v_fmac_f32_e32 v128, 0x3f4f1bbd, v60
	v_mul_f32_e32 v130, 0xbf4f1bbd, v70
	v_sub_f32_e32 v70, v91, v42
	v_sub_f32_e32 v88, v90, v45
	;; [unrolled: 1-line block ×4, first 2 shown]
	v_mov_b32_e32 v56, v40
	v_add_f32_e32 v5, v89, v99
	v_add_f32_e32 v49, v68, v128
	;; [unrolled: 1-line block ×3, first 2 shown]
	v_sub_f32_e32 v28, v89, v99
	v_sub_f32_e32 v67, v68, v128
	;; [unrolled: 1-line block ×3, first 2 shown]
	v_fmac_f32_e32 v56, 0x3f737871, v42
	v_sub_f32_e32 v45, v46, v50
	v_sub_f32_e32 v51, v52, v54
	;; [unrolled: 1-line block ×3, first 2 shown]
	v_fmac_f32_e32 v40, 0xbf737871, v42
	v_fmac_f32_e32 v56, 0x3f167918, v45
	v_add_f32_e32 v51, v51, v68
	v_fmac_f32_e32 v40, 0xbf167918, v45
	v_fmac_f32_e32 v56, 0x3e9e377a, v51
	v_fmac_f32_e32 v40, 0x3e9e377a, v51
	v_add_f32_e32 v51, v52, v57
	v_add_f32_e32 v11, v6, v52
	v_fma_f32 v6, -0.5, v51, v6
	v_mov_b32_e32 v68, v6
	v_fmac_f32_e32 v130, 0xbf167918, v65
	v_add_f32_e32 v11, v11, v54
	v_fmac_f32_e32 v68, 0xbf737871, v45
	v_fmac_f32_e32 v6, 0x3f737871, v45
	v_add_f32_e32 v45, v46, v50
	v_add_f32_e32 v65, v96, v130
	v_sub_f32_e32 v91, v96, v130
	v_add_f32_e32 v11, v11, v55
	v_sub_f32_e32 v51, v54, v52
	v_sub_f32_e32 v96, v55, v57
	v_fma_f32 v97, -0.5, v45, v7
	v_add_f32_e32 v11, v11, v57
	v_fmac_f32_e32 v68, 0x3f167918, v42
	v_add_f32_e32 v51, v51, v96
	v_fmac_f32_e32 v6, 0xbf167918, v42
	v_sub_f32_e32 v45, v52, v57
	v_mov_b32_e32 v57, v97
	v_fmac_f32_e32 v68, 0x3e9e377a, v51
	v_fmac_f32_e32 v6, 0x3e9e377a, v51
	v_fmac_f32_e32 v57, 0xbf737871, v45
	v_sub_f32_e32 v51, v54, v55
	v_sub_f32_e32 v52, v44, v46
	v_sub_f32_e32 v54, v53, v50
	v_fmac_f32_e32 v97, 0x3f737871, v45
	v_fmac_f32_e32 v57, 0xbf167918, v51
	v_add_f32_e32 v52, v52, v54
	v_fmac_f32_e32 v97, 0x3f167918, v51
	v_fmac_f32_e32 v57, 0x3e9e377a, v52
	;; [unrolled: 1-line block ×3, first 2 shown]
	v_add_f32_e32 v52, v44, v53
	v_add_f32_e32 v42, v7, v44
	v_fmac_f32_e32 v7, -0.5, v52
	v_add_f32_e32 v60, v98, v129
	v_sub_f32_e32 v71, v98, v129
	v_mov_b32_e32 v98, v7
	v_add_f32_e32 v42, v42, v46
	v_fmac_f32_e32 v98, 0x3f737871, v51
	v_sub_f32_e32 v44, v46, v44
	v_sub_f32_e32 v46, v50, v53
	v_fmac_f32_e32 v7, 0xbf737871, v51
	v_fmac_f32_e32 v98, 0xbf167918, v45
	v_add_f32_e32 v44, v44, v46
	v_fmac_f32_e32 v7, 0x3f167918, v45
	v_fmac_f32_e32 v98, 0x3e9e377a, v44
	v_fmac_f32_e32 v7, 0x3e9e377a, v44
	v_add_f32_e32 v44, v16, v29
	v_add_f32_e32 v44, v44, v30
	;; [unrolled: 1-line block ×7, first 2 shown]
	v_fma_f32 v53, -0.5, v44, v16
	v_sub_f32_e32 v44, v24, v58
	v_mov_b32_e32 v45, v53
	v_fmac_f32_e32 v45, 0x3f737871, v44
	v_sub_f32_e32 v50, v25, v26
	v_sub_f32_e32 v51, v29, v30
	;; [unrolled: 1-line block ×3, first 2 shown]
	v_fmac_f32_e32 v53, 0xbf737871, v44
	v_fmac_f32_e32 v45, 0x3f167918, v50
	v_add_f32_e32 v51, v51, v52
	v_fmac_f32_e32 v53, 0xbf167918, v50
	v_fmac_f32_e32 v45, 0x3e9e377a, v51
	;; [unrolled: 1-line block ×3, first 2 shown]
	v_add_f32_e32 v51, v29, v61
	v_fmac_f32_e32 v16, -0.5, v51
	v_mov_b32_e32 v51, v16
	v_fmac_f32_e32 v51, 0xbf737871, v50
	v_fmac_f32_e32 v16, 0x3f737871, v50
	;; [unrolled: 1-line block ×4, first 2 shown]
	v_add_f32_e32 v44, v17, v24
	v_add_f32_e32 v44, v44, v25
	v_add_f32_e32 v44, v44, v26
	v_sub_f32_e32 v52, v30, v29
	v_sub_f32_e32 v54, v31, v61
	v_add_f32_e32 v55, v44, v58
	v_add_f32_e32 v44, v25, v26
	;; [unrolled: 1-line block ×3, first 2 shown]
	v_fma_f32 v54, -0.5, v44, v17
	v_sub_f32_e32 v29, v29, v61
	v_mov_b32_e32 v61, v54
	v_fmac_f32_e32 v61, 0xbf737871, v29
	v_sub_f32_e32 v30, v30, v31
	v_sub_f32_e32 v31, v24, v25
	;; [unrolled: 1-line block ×3, first 2 shown]
	v_fmac_f32_e32 v54, 0x3f737871, v29
	v_fmac_f32_e32 v61, 0xbf167918, v30
	v_add_f32_e32 v31, v31, v44
	v_fmac_f32_e32 v54, 0x3f167918, v30
	v_fmac_f32_e32 v61, 0x3e9e377a, v31
	;; [unrolled: 1-line block ×3, first 2 shown]
	v_add_f32_e32 v31, v24, v58
	v_fmac_f32_e32 v17, -0.5, v31
	v_mov_b32_e32 v31, v17
	v_fmac_f32_e32 v31, 0x3f737871, v30
	v_sub_f32_e32 v24, v25, v24
	v_sub_f32_e32 v25, v26, v58
	v_fmac_f32_e32 v17, 0xbf737871, v30
	v_fmac_f32_e32 v51, 0x3e9e377a, v52
	;; [unrolled: 1-line block ×3, first 2 shown]
	v_add_f32_e32 v24, v24, v25
	v_fmac_f32_e32 v17, 0x3f167918, v29
	v_mul_f32_e32 v128, 0xbf167918, v45
	v_fmac_f32_e32 v31, 0x3e9e377a, v24
	v_fmac_f32_e32 v17, 0x3e9e377a, v24
	v_mul_f32_e32 v26, 0x3f167918, v61
	v_fmac_f32_e32 v128, 0x3f4f1bbd, v61
	v_mul_f32_e32 v61, 0xbf737871, v51
	;; [unrolled: 2-line block ×4, first 2 shown]
	v_add_f32_e32 v24, v11, v46
	v_mul_f32_e32 v96, 0xbe9e377a, v16
	v_fmac_f32_e32 v31, 0xbf737871, v16
	v_sub_f32_e32 v16, v11, v46
	v_add_f32_e32 v11, v0, v38
	v_add_f32_e32 v11, v11, v41
	v_fmac_f32_e32 v26, 0x3f4f1bbd, v45
	v_mul_f32_e32 v99, 0xbf4f1bbd, v53
	v_add_f32_e32 v11, v11, v43
	v_add_f32_e32 v29, v56, v26
	v_fmac_f32_e32 v99, 0x3f167918, v54
	v_mul_f32_e32 v129, 0xbf4f1bbd, v54
	v_sub_f32_e32 v54, v56, v26
	v_add_f32_e32 v26, v11, v47
	v_add_f32_e32 v11, v41, v43
	v_fmac_f32_e32 v35, v21, v118
	v_fmac_f32_e32 v58, 0x3e9e377a, v51
	;; [unrolled: 1-line block ×3, first 2 shown]
	v_add_f32_e32 v51, v7, v31
	v_sub_f32_e32 v7, v7, v31
	v_fma_f32 v31, -0.5, v11, v0
	v_add_f32_e32 v50, v6, v96
	v_add_f32_e32 v52, v40, v99
	v_sub_f32_e32 v6, v6, v96
	v_sub_f32_e32 v96, v40, v99
	;; [unrolled: 1-line block ×3, first 2 shown]
	v_mov_b32_e32 v40, v31
	v_add_f32_e32 v44, v68, v58
	v_add_f32_e32 v25, v42, v55
	v_sub_f32_e32 v56, v68, v58
	v_sub_f32_e32 v17, v42, v55
	v_fmac_f32_e32 v40, 0x3f737871, v11
	v_sub_f32_e32 v42, v36, v37
	v_sub_f32_e32 v46, v38, v41
	;; [unrolled: 1-line block ×3, first 2 shown]
	v_fmac_f32_e32 v31, 0xbf737871, v11
	v_fmac_f32_e32 v40, 0x3f167918, v42
	v_add_f32_e32 v46, v46, v58
	v_fmac_f32_e32 v31, 0xbf167918, v42
	v_fmac_f32_e32 v40, 0x3e9e377a, v46
	;; [unrolled: 1-line block ×3, first 2 shown]
	v_add_f32_e32 v46, v38, v47
	v_fma_f32 v0, -0.5, v46, v0
	v_mov_b32_e32 v46, v0
	v_fmac_f32_e32 v46, 0xbf737871, v42
	v_fmac_f32_e32 v0, 0x3f737871, v42
	;; [unrolled: 1-line block ×4, first 2 shown]
	v_add_f32_e32 v11, v1, v35
	v_add_f32_e32 v11, v11, v36
	;; [unrolled: 1-line block ×4, first 2 shown]
	v_sub_f32_e32 v55, v57, v128
	v_sub_f32_e32 v57, v98, v61
	;; [unrolled: 1-line block ×4, first 2 shown]
	v_add_f32_e32 v11, v11, v37
	v_add_f32_e32 v58, v58, v61
	v_add_f32_e32 v42, v11, v39
	v_add_f32_e32 v11, v36, v37
	v_fmac_f32_e32 v46, 0x3e9e377a, v58
	v_fmac_f32_e32 v0, 0x3e9e377a, v58
	v_fma_f32 v58, -0.5, v11, v1
	v_sub_f32_e32 v11, v38, v47
	v_mov_b32_e32 v38, v58
	v_fmac_f32_e32 v38, 0xbf737871, v11
	v_sub_f32_e32 v41, v41, v43
	v_sub_f32_e32 v43, v35, v36
	;; [unrolled: 1-line block ×3, first 2 shown]
	v_fmac_f32_e32 v58, 0x3f737871, v11
	v_fmac_f32_e32 v38, 0xbf167918, v41
	v_add_f32_e32 v43, v43, v47
	v_fmac_f32_e32 v58, 0x3f167918, v41
	v_fmac_f32_e32 v38, 0x3e9e377a, v43
	;; [unrolled: 1-line block ×3, first 2 shown]
	v_add_f32_e32 v43, v35, v39
	v_fmac_f32_e32 v1, -0.5, v43
	v_mul_f32_e32 v14, v135, v117
	v_mul_f32_e32 v18, v139, v105
	v_mov_b32_e32 v43, v1
	v_fma_f32 v14, v134, v116, -v14
	v_fma_f32 v21, v138, v104, -v18
	v_mul_f32_e32 v19, v143, v101
	v_fmac_f32_e32 v43, 0x3f737871, v41
	v_fmac_f32_e32 v1, 0xbf737871, v41
	v_fma_f32 v22, v142, v100, -v19
	v_mul_f32_e32 v20, v147, v93
	v_fmac_f32_e32 v43, 0xbf167918, v11
	v_fmac_f32_e32 v1, 0x3f167918, v11
	v_add_f32_e32 v11, v14, v21
	v_fma_f32 v23, v146, v92, -v20
	v_add_f32_e32 v11, v11, v22
	v_add_f32_e32 v11, v11, v23
	v_mul_f32_e32 v18, v138, v105
	v_sub_f32_e32 v35, v36, v35
	v_sub_f32_e32 v36, v37, v39
	v_add_f32_e32 v37, v11, v69
	v_add_f32_e32 v11, v22, v23
	v_fmac_f32_e32 v18, v139, v104
	v_mul_f32_e32 v19, v142, v101
	v_mul_f32_e32 v20, v146, v93
	v_add_f32_e32 v35, v35, v36
	v_fma_f32 v36, -0.5, v11, v14
	v_fmac_f32_e32 v19, v143, v100
	v_fmac_f32_e32 v20, v147, v92
	v_sub_f32_e32 v11, v18, v10
	v_mov_b32_e32 v39, v36
	v_fmac_f32_e32 v43, 0x3e9e377a, v35
	v_fmac_f32_e32 v1, 0x3e9e377a, v35
	;; [unrolled: 1-line block ×3, first 2 shown]
	v_sub_f32_e32 v35, v19, v20
	v_sub_f32_e32 v41, v21, v22
	;; [unrolled: 1-line block ×3, first 2 shown]
	v_fmac_f32_e32 v36, 0xbf737871, v11
	v_fmac_f32_e32 v39, 0x3f167918, v35
	v_add_f32_e32 v41, v41, v47
	v_fmac_f32_e32 v36, 0xbf167918, v35
	v_fmac_f32_e32 v39, 0x3e9e377a, v41
	;; [unrolled: 1-line block ×3, first 2 shown]
	v_add_f32_e32 v41, v21, v69
	v_fmac_f32_e32 v14, -0.5, v41
	v_mul_f32_e32 v15, v134, v117
	v_mov_b32_e32 v41, v14
	v_fmac_f32_e32 v15, v135, v116
	v_fmac_f32_e32 v41, 0xbf737871, v35
	;; [unrolled: 1-line block ×5, first 2 shown]
	v_add_f32_e32 v11, v15, v18
	v_sub_f32_e32 v47, v22, v21
	v_sub_f32_e32 v61, v23, v69
	v_add_f32_e32 v11, v11, v19
	v_add_f32_e32 v47, v47, v61
	;; [unrolled: 1-line block ×3, first 2 shown]
	v_fmac_f32_e32 v41, 0x3e9e377a, v47
	v_fmac_f32_e32 v14, 0x3e9e377a, v47
	v_add_f32_e32 v47, v11, v10
	v_add_f32_e32 v11, v19, v20
	v_fma_f32 v61, -0.5, v11, v15
	v_sub_f32_e32 v11, v21, v69
	v_mov_b32_e32 v21, v61
	v_fmac_f32_e32 v21, 0xbf737871, v11
	v_sub_f32_e32 v22, v22, v23
	v_sub_f32_e32 v23, v18, v19
	;; [unrolled: 1-line block ×3, first 2 shown]
	v_fmac_f32_e32 v61, 0x3f737871, v11
	v_fmac_f32_e32 v21, 0xbf167918, v22
	v_add_f32_e32 v23, v23, v35
	v_fmac_f32_e32 v61, 0x3f167918, v22
	v_fmac_f32_e32 v21, 0x3e9e377a, v23
	;; [unrolled: 1-line block ×3, first 2 shown]
	v_add_f32_e32 v23, v18, v10
	v_fmac_f32_e32 v15, -0.5, v23
	v_mov_b32_e32 v23, v15
	v_fmac_f32_e32 v23, 0x3f737871, v22
	v_sub_f32_e32 v18, v19, v18
	v_sub_f32_e32 v10, v20, v10
	v_fmac_f32_e32 v15, 0xbf737871, v22
	v_fmac_f32_e32 v23, 0xbf167918, v11
	v_add_f32_e32 v10, v18, v10
	v_fmac_f32_e32 v15, 0x3f167918, v11
	v_fmac_f32_e32 v129, 0xbf167918, v53
	;; [unrolled: 1-line block ×4, first 2 shown]
	v_mul_f32_e32 v68, 0x3f167918, v21
	v_mul_f32_e32 v98, 0xbe9e377a, v14
	;; [unrolled: 1-line block ×4, first 2 shown]
	v_add_f32_e32 v53, v97, v129
	v_sub_f32_e32 v97, v97, v129
	v_fmac_f32_e32 v68, 0x3f4f1bbd, v39
	v_mul_f32_e32 v69, 0x3f737871, v23
	v_fmac_f32_e32 v98, 0x3f737871, v15
	v_fmac_f32_e32 v99, 0x3f167918, v61
	;; [unrolled: 1-line block ×3, first 2 shown]
	v_mul_f32_e32 v129, 0xbf737871, v41
	v_mul_f32_e32 v130, 0xbe9e377a, v15
	;; [unrolled: 1-line block ×3, first 2 shown]
	ds_write2_b64 v12, v[4:5], v[48:49] offset1:10
	ds_write2_b64 v12, v[59:60], v[62:63] offset0:20 offset1:30
	ds_write2_b64 v12, v[64:65], v[27:28] offset0:40 offset1:50
	;; [unrolled: 1-line block ×4, first 2 shown]
	buffer_store_dword v2, off, s[24:27], 0 offset:196 ; 4-byte Folded Spill
	ds_write2_b64 v2, v[24:25], v[29:30] offset1:10
	ds_write2_b64 v2, v[44:45], v[50:51] offset0:20 offset1:30
	ds_write2_b64 v2, v[52:53], v[16:17] offset0:40 offset1:50
	;; [unrolled: 1-line block ×4, first 2 shown]
	v_mad_legacy_u16 v2, v8, s4, v9
	v_add_f32_e32 v10, v26, v37
	v_add_f32_e32 v18, v40, v68
	v_fmac_f32_e32 v69, 0x3e9e377a, v41
	v_add_f32_e32 v22, v0, v98
	v_add_f32_e32 v11, v42, v47
	;; [unrolled: 1-line block ×3, first 2 shown]
	v_fmac_f32_e32 v129, 0x3e9e377a, v23
	v_fmac_f32_e32 v130, 0xbf737871, v14
	;; [unrolled: 1-line block ×3, first 2 shown]
	v_sub_f32_e32 v0, v0, v98
	v_lshlrev_b32_e32 v2, 3, v2
	v_add_f32_e32 v20, v46, v69
	v_add_f32_e32 v35, v31, v99
	;; [unrolled: 1-line block ×5, first 2 shown]
	v_sub_f32_e32 v14, v26, v37
	v_sub_f32_e32 v37, v40, v68
	;; [unrolled: 1-line block ×9, first 2 shown]
	buffer_store_dword v2, off, s[24:27], 0 offset:200 ; 4-byte Folded Spill
	ds_write2_b64 v2, v[10:11], v[18:19] offset1:10
	ds_write2_b64 v2, v[20:21], v[22:23] offset0:20 offset1:30
	ds_write2_b64 v2, v[35:36], v[14:15] offset0:40 offset1:50
	;; [unrolled: 1-line block ×4, first 2 shown]
	v_add_u32_e32 v0, 0xffffff9c, v238
	s_waitcnt vmcnt(0) lgkmcnt(0)
	s_barrier
	ds_read2_b64 v[48:51], v247 offset1:120
	ds_read2_b64 v[40:43], v154 offset0:96 offset1:216
	ds_read2_b64 v[14:17], v155 offset0:48 offset1:168
	;; [unrolled: 1-line block ×8, first 2 shown]
	v_cndmask_b32_e32 v156, v0, v238, vcc
	v_mul_i32_i24_e32 v1, 40, v156
	v_mul_hi_i32_i24_e32 v0, 40, v156
	v_add_co_u32_e32 v4, vcc, s10, v1
	v_addc_co_u32_e32 v5, vcc, v34, v0, vcc
	ds_read2_b64 v[44:47], v153 offset0:112 offset1:232
	ds_read2_b64 v[134:137], v191 offset0:32 offset1:152
	;; [unrolled: 1-line block ×6, first 2 shown]
	global_load_dwordx2 v[236:237], v[4:5], off offset:752
	global_load_dwordx4 v[230:233], v[4:5], off offset:736
	s_nop 0
	global_load_dwordx4 v[4:7], v[4:5], off offset:720
	v_mov_b32_e32 v2, v148
	v_mov_b32_e32 v242, v240
	;; [unrolled: 1-line block ×4, first 2 shown]
	s_waitcnt vmcnt(2) lgkmcnt(9)
	v_mul_f32_e32 v96, v58, v237
	s_waitcnt vmcnt(1)
	v_mul_f32_e32 v133, v18, v233
	s_waitcnt vmcnt(0)
	v_mul_f32_e32 v8, v43, v5
	v_fma_f32 v88, v42, v4, -v8
	v_mul_f32_e32 v8, v15, v7
	v_fma_f32 v130, v14, v6, -v8
	;; [unrolled: 2-line block ×3, first 2 shown]
	v_mul_f32_e32 v8, v19, v233
	v_mul_f32_e32 v62, v62, v231
	v_fma_f32 v131, v18, v232, -v8
	v_mul_f32_e32 v8, v59, v237
	v_fmac_f32_e32 v62, v63, v230
	v_fma_f32 v63, v58, v236, -v8
	v_mov_b32_e32 v8, 41
	v_mul_lo_u16_sdwa v8, v32, v8 dst_sel:DWORD dst_unused:UNUSED_PAD src0_sel:BYTE_0 src1_sel:DWORD
	v_lshrrev_b16_e32 v154, 12, v8
	v_mul_lo_u16_e32 v8, 0x64, v154
	v_sub_u16_e32 v8, v32, v8
	v_and_b32_e32 v155, 0xff, v8
	v_mad_u64_u32 v[12:13], s[4:5], v155, 40, s[10:11]
	v_mul_f32_e32 v132, v14, v7
	v_fmac_f32_e32 v132, v15, v6
	global_load_dwordx2 v[234:235], v[12:13], off offset:752
	global_load_dwordx4 v[8:11], v[12:13], off offset:736
	s_nop 0
	global_load_dwordx4 v[12:15], v[12:13], off offset:720
	v_mul_f32_e32 v42, v42, v5
	v_fmac_f32_e32 v42, v43, v4
	v_fmac_f32_e32 v96, v59, v236
	;; [unrolled: 1-line block ×3, first 2 shown]
	s_movk_i32 s4, 0x63
	s_waitcnt vmcnt(2) lgkmcnt(6)
	v_mul_f32_e32 v97, v35, v235
	s_waitcnt vmcnt(1)
	v_mul_f32_e32 v129, v20, v11
	s_waitcnt vmcnt(0)
	v_mul_f32_e32 v18, v23, v13
	v_fma_f32 v43, v22, v12, -v18
	v_mul_f32_e32 v18, v17, v15
	v_fma_f32 v98, v16, v14, -v18
	v_mul_f32_e32 v99, v16, v15
	v_mul_f32_e32 v16, v27, v9
	v_fma_f32 v59, v26, v8, -v16
	v_mul_f32_e32 v16, v21, v11
	v_fma_f32 v128, v20, v10, -v16
	;; [unrolled: 2-line block ×3, first 2 shown]
	v_lshrrev_b16_e32 v16, 2, v33
	v_mul_u32_u24_e32 v16, 0x147b, v16
	v_lshrrev_b32_e32 v148, 17, v16
	v_mul_lo_u16_e32 v16, 0x64, v148
	v_sub_u16_e32 v149, v33, v16
	v_mul_lo_u16_e32 v16, 40, v149
	v_add_co_u32_e32 v20, vcc, s10, v16
	v_mul_f32_e32 v58, v22, v13
	v_fmac_f32_e32 v129, v21, v10
	v_addc_co_u32_e32 v21, vcc, 0, v34, vcc
	v_fmac_f32_e32 v58, v23, v12
	v_fmac_f32_e32 v99, v17, v14
	global_load_dwordx2 v[228:229], v[20:21], off offset:752
	global_load_dwordx4 v[16:19], v[20:21], off offset:736
	s_nop 0
	global_load_dwordx4 v[20:23], v[20:21], off offset:720
	v_mul_f32_e32 v90, v26, v9
	v_fmac_f32_e32 v90, v27, v8
	v_fmac_f32_e32 v97, v36, v234
	s_waitcnt vmcnt(2)
	v_mul_f32_e32 v162, v37, v229
	s_waitcnt vmcnt(1)
	v_mul_f32_e32 v160, v28, v17
	;; [unrolled: 2-line block ×3, first 2 shown]
	v_fma_f32 v157, v24, v20, -v26
	v_mul_f32_e32 v158, v24, v21
	s_waitcnt lgkmcnt(4)
	v_mul_f32_e32 v24, v135, v23
	v_fma_f32 v163, v134, v22, -v24
	v_mul_f32_e32 v24, v29, v17
	v_fma_f32 v159, v28, v16, -v24
	s_waitcnt lgkmcnt(3)
	v_mul_f32_e32 v24, v139, v19
	v_fma_f32 v166, v138, v18, -v24
	v_mul_f32_e32 v24, v38, v229
	v_fma_f32 v161, v37, v228, -v24
	v_add_u16_e32 v24, 0x168, v238
	v_fmac_f32_e32 v158, v25, v20
	v_lshrrev_b16_e32 v25, 2, v24
	v_mul_u32_u24_e32 v25, 0x147b, v25
	v_lshrrev_b32_e32 v150, 17, v25
	v_mul_lo_u16_e32 v25, 0x64, v150
	v_sub_u16_e32 v151, v24, v25
	v_mul_lo_u16_e32 v24, 40, v151
	v_add_co_u32_e32 v28, vcc, s10, v24
	v_fmac_f32_e32 v160, v29, v16
	v_addc_co_u32_e32 v29, vcc, 0, v34, vcc
	global_load_dwordx2 v[226:227], v[28:29], off offset:752
	global_load_dwordx4 v[24:27], v[28:29], off offset:736
	s_nop 0
	global_load_dwordx4 v[28:31], v[28:29], off offset:720
	v_fmac_f32_e32 v162, v38, v228
	v_mul_f32_e32 v167, v138, v19
	v_fmac_f32_e32 v167, v139, v18
	v_mul_f32_e32 v165, v134, v23
	v_fmac_f32_e32 v165, v135, v22
	s_waitcnt vmcnt(2) lgkmcnt(0)
	v_mul_f32_e32 v168, v52, v227
	v_fmac_f32_e32 v168, v53, v226
	s_waitcnt vmcnt(0)
	v_mul_f32_e32 v32, v69, v29
	v_fma_f32 v164, v68, v28, -v32
	v_mul_f32_e32 v32, v137, v31
	v_mul_f32_e32 v68, v68, v29
	v_fma_f32 v169, v136, v30, -v32
	v_mul_f32_e32 v32, v65, v25
	v_fmac_f32_e32 v68, v69, v28
	v_fma_f32 v69, v64, v24, -v32
	v_mul_f32_e32 v32, v141, v27
	v_mul_f32_e32 v64, v64, v25
	v_fma_f32 v171, v140, v26, -v32
	v_mul_f32_e32 v32, v53, v227
	v_fmac_f32_e32 v64, v65, v24
	v_fma_f32 v65, v52, v226, -v32
	v_add_u16_e32 v32, 0x1e0, v238
	v_lshrrev_b16_e32 v33, 2, v32
	v_mul_u32_u24_e32 v33, 0x147b, v33
	v_lshrrev_b32_e32 v152, 17, v33
	v_mul_lo_u16_e32 v33, 0x64, v152
	v_sub_u16_e32 v153, v32, v33
	v_mul_lo_u16_e32 v32, 40, v153
	v_add_co_u32_e32 v36, vcc, s10, v32
	v_addc_co_u32_e32 v37, vcc, 0, v34, vcc
	global_load_dwordx2 v[224:225], v[36:37], off offset:752
	global_load_dwordx4 v[32:35], v[36:37], off offset:736
	s_nop 0
	global_load_dwordx4 v[36:39], v[36:37], off offset:720
	v_add_f32_e32 v53, v130, v131
	v_mul_f32_e32 v170, v136, v31
	v_mul_f32_e32 v172, v140, v27
	v_fmac_f32_e32 v170, v137, v30
	v_fmac_f32_e32 v172, v141, v26
	v_cmp_lt_u16_e32 vcc, s4, v238
	s_waitcnt vmcnt(0)
	s_barrier
	s_movk_i32 s4, 0x258
	v_mul_f32_e32 v178, v54, v225
	v_fmac_f32_e32 v178, v55, v224
	v_mul_f32_e32 v52, v71, v37
	v_fma_f32 v173, v70, v36, -v52
	v_mul_f32_e32 v70, v70, v37
	v_mul_f32_e32 v52, v61, v39
	v_fmac_f32_e32 v70, v71, v36
	v_fma_f32 v71, v60, v38, -v52
	v_mul_f32_e32 v52, v67, v33
	v_fma_f32 v175, v66, v32, -v52
	v_mul_f32_e32 v66, v66, v33
	v_mul_f32_e32 v52, v57, v35
	v_fmac_f32_e32 v66, v67, v32
	v_fma_f32 v67, v56, v34, -v52
	v_mul_f32_e32 v52, v55, v225
	v_fma_f32 v177, v54, v224, -v52
	v_add_f32_e32 v52, v48, v130
	v_fma_f32 v48, -0.5, v53, v48
	v_sub_f32_e32 v53, v132, v133
	v_mov_b32_e32 v54, v48
	v_add_f32_e32 v55, v132, v133
	v_mul_f32_e32 v176, v56, v35
	v_fmac_f32_e32 v54, 0x3f5db3d7, v53
	v_fmac_f32_e32 v48, 0xbf5db3d7, v53
	v_add_f32_e32 v53, v49, v132
	v_fma_f32 v49, -0.5, v55, v49
	v_fmac_f32_e32 v176, v57, v34
	v_sub_f32_e32 v55, v130, v131
	v_mov_b32_e32 v56, v49
	v_add_f32_e32 v57, v89, v63
	v_mul_f32_e32 v174, v60, v39
	v_fmac_f32_e32 v56, 0xbf5db3d7, v55
	v_fmac_f32_e32 v49, 0x3f5db3d7, v55
	v_add_f32_e32 v55, v88, v89
	v_fmac_f32_e32 v88, -0.5, v57
	v_fmac_f32_e32 v174, v61, v38
	v_sub_f32_e32 v57, v62, v96
	v_mov_b32_e32 v60, v88
	v_add_f32_e32 v61, v62, v96
	v_fmac_f32_e32 v60, 0x3f5db3d7, v57
	v_fmac_f32_e32 v88, 0xbf5db3d7, v57
	v_add_f32_e32 v57, v42, v62
	v_fmac_f32_e32 v42, -0.5, v61
	v_sub_f32_e32 v61, v89, v63
	v_add_f32_e32 v55, v55, v63
	v_mov_b32_e32 v62, v42
	v_fmac_f32_e32 v42, 0x3f5db3d7, v61
	v_mul_f32_e32 v63, -0.5, v88
	v_fmac_f32_e32 v63, 0x3f5db3d7, v42
	v_add_f32_e32 v136, v48, v63
	v_mul_f32_e32 v42, -0.5, v42
	v_sub_f32_e32 v140, v48, v63
	v_add_f32_e32 v48, v98, v128
	v_add_f32_e32 v52, v52, v131
	v_fmac_f32_e32 v62, 0xbf5db3d7, v61
	v_fmac_f32_e32 v42, 0xbf5db3d7, v88
	v_fma_f32 v48, -0.5, v48, v50
	v_add_f32_e32 v142, v52, v55
	v_mul_f32_e32 v61, 0x3f5db3d7, v62
	v_add_f32_e32 v137, v49, v42
	v_sub_f32_e32 v144, v52, v55
	v_sub_f32_e32 v141, v49, v42
	v_add_f32_e32 v42, v50, v98
	v_sub_f32_e32 v49, v99, v129
	v_mov_b32_e32 v50, v48
	v_add_f32_e32 v52, v99, v129
	v_add_f32_e32 v53, v53, v133
	;; [unrolled: 1-line block ×3, first 2 shown]
	v_fmac_f32_e32 v61, 0.5, v60
	v_fmac_f32_e32 v50, 0x3f5db3d7, v49
	v_fmac_f32_e32 v48, 0xbf5db3d7, v49
	v_add_f32_e32 v49, v51, v99
	v_fmac_f32_e32 v51, -0.5, v52
	v_add_f32_e32 v146, v54, v61
	v_add_f32_e32 v143, v53, v57
	v_mul_f32_e32 v60, 0xbf5db3d7, v60
	v_sub_f32_e32 v138, v54, v61
	v_sub_f32_e32 v145, v53, v57
	;; [unrolled: 1-line block ×3, first 2 shown]
	v_mov_b32_e32 v53, v51
	v_add_f32_e32 v54, v59, v91
	v_fmac_f32_e32 v60, 0.5, v62
	v_fmac_f32_e32 v53, 0xbf5db3d7, v52
	v_fmac_f32_e32 v51, 0x3f5db3d7, v52
	v_add_f32_e32 v52, v43, v59
	v_fmac_f32_e32 v43, -0.5, v54
	v_add_f32_e32 v147, v56, v60
	v_sub_f32_e32 v139, v56, v60
	v_sub_f32_e32 v54, v90, v97
	v_mov_b32_e32 v55, v43
	v_add_f32_e32 v56, v90, v97
	v_fmac_f32_e32 v55, 0x3f5db3d7, v54
	v_fmac_f32_e32 v43, 0xbf5db3d7, v54
	v_add_f32_e32 v54, v58, v90
	v_fmac_f32_e32 v58, -0.5, v56
	v_sub_f32_e32 v56, v59, v91
	v_add_f32_e32 v42, v42, v128
	v_add_f32_e32 v52, v52, v91
	v_mov_b32_e32 v57, v58
	v_fmac_f32_e32 v58, 0x3f5db3d7, v56
	v_mul_f32_e32 v59, -0.5, v43
	v_add_f32_e32 v132, v42, v52
	v_fmac_f32_e32 v59, 0x3f5db3d7, v58
	v_sub_f32_e32 v130, v42, v52
	v_add_f32_e32 v42, v44, v163
	v_add_f32_e32 v49, v49, v129
	;; [unrolled: 1-line block ×3, first 2 shown]
	v_fmac_f32_e32 v57, 0xbf5db3d7, v56
	v_add_f32_e32 v128, v48, v59
	v_sub_f32_e32 v98, v48, v59
	v_add_f32_e32 v48, v42, v166
	v_add_f32_e32 v42, v163, v166
	v_mul_f32_e32 v56, 0x3f5db3d7, v57
	v_add_f32_e32 v133, v49, v54
	v_sub_f32_e32 v131, v49, v54
	v_fma_f32 v49, -0.5, v42, v44
	v_fmac_f32_e32 v56, 0.5, v55
	v_mul_f32_e32 v55, 0xbf5db3d7, v55
	v_sub_f32_e32 v42, v165, v167
	v_mov_b32_e32 v52, v49
	v_fmac_f32_e32 v55, 0.5, v57
	v_fmac_f32_e32 v52, 0x3f5db3d7, v42
	v_fmac_f32_e32 v49, 0xbf5db3d7, v42
	v_add_f32_e32 v42, v45, v165
	v_add_f32_e32 v135, v53, v55
	v_mul_f32_e32 v57, -0.5, v58
	v_sub_f32_e32 v97, v53, v55
	v_add_f32_e32 v53, v42, v167
	v_add_f32_e32 v42, v165, v167
	v_add_f32_e32 v134, v50, v56
	v_fmac_f32_e32 v57, 0xbf5db3d7, v43
	v_sub_f32_e32 v96, v50, v56
	v_fma_f32 v56, -0.5, v42, v45
	v_add_f32_e32 v129, v51, v57
	v_sub_f32_e32 v99, v51, v57
	v_sub_f32_e32 v42, v163, v166
	v_mov_b32_e32 v57, v56
	v_fmac_f32_e32 v57, 0xbf5db3d7, v42
	v_fmac_f32_e32 v56, 0x3f5db3d7, v42
	v_add_f32_e32 v42, v157, v159
	v_add_f32_e32 v54, v42, v161
	;; [unrolled: 1-line block ×3, first 2 shown]
	v_fmac_f32_e32 v157, -0.5, v42
	v_sub_f32_e32 v42, v160, v162
	v_mov_b32_e32 v43, v157
	v_fmac_f32_e32 v43, 0x3f5db3d7, v42
	v_fmac_f32_e32 v157, 0xbf5db3d7, v42
	v_add_f32_e32 v42, v158, v160
	v_add_f32_e32 v55, v42, v162
	v_add_f32_e32 v42, v160, v162
	v_fmac_f32_e32 v158, -0.5, v42
	v_sub_f32_e32 v42, v159, v161
	v_mov_b32_e32 v51, v158
	v_fmac_f32_e32 v158, 0x3f5db3d7, v42
	v_fmac_f32_e32 v51, 0xbf5db3d7, v42
	v_mul_f32_e32 v61, -0.5, v158
	v_mul_f32_e32 v58, 0x3f5db3d7, v51
	v_mul_f32_e32 v59, -0.5, v157
	v_mul_f32_e32 v60, 0xbf5db3d7, v43
	v_fmac_f32_e32 v61, 0xbf5db3d7, v157
	v_fmac_f32_e32 v58, 0.5, v43
	v_fmac_f32_e32 v59, 0x3f5db3d7, v158
	v_add_f32_e32 v45, v53, v55
	v_fmac_f32_e32 v60, 0.5, v51
	v_add_f32_e32 v43, v56, v61
	v_sub_f32_e32 v55, v53, v55
	v_sub_f32_e32 v53, v56, v61
	v_add_f32_e32 v56, v46, v169
	v_add_f32_e32 v44, v48, v54
	;; [unrolled: 1-line block ×5, first 2 shown]
	v_sub_f32_e32 v54, v48, v54
	v_sub_f32_e32 v48, v52, v58
	;; [unrolled: 1-line block ×4, first 2 shown]
	v_add_f32_e32 v60, v56, v171
	v_add_f32_e32 v56, v169, v171
	v_fma_f32 v46, -0.5, v56, v46
	v_sub_f32_e32 v56, v170, v172
	v_mov_b32_e32 v61, v46
	v_fmac_f32_e32 v61, 0x3f5db3d7, v56
	v_fmac_f32_e32 v46, 0xbf5db3d7, v56
	v_add_f32_e32 v56, v47, v170
	v_add_f32_e32 v88, v56, v172
	v_add_f32_e32 v56, v170, v172
	v_fmac_f32_e32 v47, -0.5, v56
	v_sub_f32_e32 v56, v169, v171
	v_mov_b32_e32 v89, v47
	v_fmac_f32_e32 v89, 0xbf5db3d7, v56
	v_fmac_f32_e32 v47, 0x3f5db3d7, v56
	v_add_f32_e32 v56, v164, v69
	v_add_f32_e32 v90, v56, v65
	v_add_f32_e32 v56, v69, v65
	v_fmac_f32_e32 v164, -0.5, v56
	;; [unrolled: 8-line block ×3, first 2 shown]
	v_sub_f32_e32 v56, v69, v65
	v_mov_b32_e32 v63, v68
	v_fmac_f32_e32 v68, 0x3f5db3d7, v56
	v_mul_f32_e32 v69, -0.5, v164
	v_fmac_f32_e32 v63, 0xbf5db3d7, v56
	v_fmac_f32_e32 v69, 0x3f5db3d7, v68
	v_mul_f32_e32 v68, -0.5, v68
	v_mul_f32_e32 v65, 0x3f5db3d7, v63
	v_fmac_f32_e32 v68, 0xbf5db3d7, v164
	v_fmac_f32_e32 v65, 0.5, v57
	v_mul_f32_e32 v157, 0xbf5db3d7, v57
	v_add_f32_e32 v57, v47, v68
	v_sub_f32_e32 v47, v47, v68
	v_add_f32_e32 v68, v40, v71
	v_add_f32_e32 v58, v60, v90
	v_sub_f32_e32 v64, v60, v90
	v_add_f32_e32 v90, v68, v67
	v_add_f32_e32 v68, v71, v67
	v_fma_f32 v40, -0.5, v68, v40
	v_add_f32_e32 v62, v61, v65
	v_add_f32_e32 v59, v88, v91
	v_sub_f32_e32 v60, v61, v65
	v_sub_f32_e32 v65, v88, v91
	;; [unrolled: 1-line block ×3, first 2 shown]
	v_mov_b32_e32 v91, v40
	v_fmac_f32_e32 v157, 0.5, v63
	v_fmac_f32_e32 v91, 0x3f5db3d7, v68
	v_fmac_f32_e32 v40, 0xbf5db3d7, v68
	v_add_f32_e32 v68, v41, v174
	v_add_f32_e32 v63, v89, v157
	v_sub_f32_e32 v61, v89, v157
	v_add_f32_e32 v157, v68, v176
	v_add_f32_e32 v68, v174, v176
	v_fmac_f32_e32 v41, -0.5, v68
	v_sub_f32_e32 v67, v71, v67
	v_mov_b32_e32 v71, v41
	v_fmac_f32_e32 v71, 0xbf5db3d7, v67
	v_fmac_f32_e32 v41, 0x3f5db3d7, v67
	v_add_f32_e32 v67, v173, v175
	v_add_f32_e32 v158, v67, v177
	;; [unrolled: 1-line block ×3, first 2 shown]
	v_fmac_f32_e32 v173, -0.5, v67
	v_sub_f32_e32 v67, v66, v178
	v_mov_b32_e32 v89, v173
	v_fmac_f32_e32 v89, 0x3f5db3d7, v67
	v_fmac_f32_e32 v173, 0xbf5db3d7, v67
	v_add_f32_e32 v67, v70, v66
	v_add_f32_e32 v66, v66, v178
	v_fmac_f32_e32 v70, -0.5, v66
	v_add_f32_e32 v159, v67, v178
	v_sub_f32_e32 v66, v175, v177
	v_mov_b32_e32 v67, v70
	v_fmac_f32_e32 v67, 0xbf5db3d7, v66
	v_mul_f32_e32 v160, 0x3f5db3d7, v67
	v_fmac_f32_e32 v70, 0x3f5db3d7, v66
	v_fmac_f32_e32 v160, 0.5, v89
	v_mul_f32_e32 v161, -0.5, v173
	v_add_f32_e32 v56, v46, v69
	v_sub_f32_e32 v46, v46, v69
	v_add_f32_e32 v88, v91, v160
	v_fmac_f32_e32 v161, 0x3f5db3d7, v70
	v_add_f32_e32 v69, v157, v159
	v_mul_f32_e32 v163, -0.5, v70
	v_sub_f32_e32 v70, v91, v160
	v_sub_f32_e32 v91, v157, v159
	v_mov_b32_e32 v157, 0x258
	v_cndmask_b32_e32 v157, 0, v157, vcc
	v_add_lshl_u32 v0, v156, v157, 3
	v_add_u32_e32 v3, 0x400, v0
	ds_write2_b64 v3, v[136:137], v[144:145] offset0:72 offset1:172
	v_mul_u32_u24_e32 v136, 0x258, v154
	ds_write2_b64 v0, v[142:143], v[146:147] offset1:100
	buffer_store_dword v0, off, s[24:27], 0 offset:216 ; 4-byte Folded Spill
	buffer_store_dword v3, off, s[24:27], 0 offset:208 ; 4-byte Folded Spill
	v_add_u32_e32 v3, 0x800, v0
	v_add_lshl_u32 v0, v136, v155, 3
	buffer_store_dword v3, off, s[24:27], 0 offset:212 ; 4-byte Folded Spill
	ds_write2_b64 v3, v[138:139], v[140:141] offset0:144 offset1:244
	v_add_u32_e32 v3, 0x400, v0
	buffer_store_dword v3, off, s[24:27], 0 offset:220 ; 4-byte Folded Spill
	ds_write2_b64 v3, v[128:129], v[130:131] offset0:72 offset1:172
	v_add_u32_e32 v3, 0x800, v0
	ds_write2_b64 v3, v[96:97], v[98:99] offset0:144 offset1:244
	v_mad_legacy_u16 v96, v148, s4, v149
	ds_write2_b64 v0, v[132:133], v[134:135] offset1:100
	buffer_store_dword v0, off, s[24:27], 0 offset:228 ; 4-byte Folded Spill
	v_lshlrev_b32_e32 v0, 3, v96
	buffer_store_dword v3, off, s[24:27], 0 offset:224 ; 4-byte Folded Spill
	v_add_u32_e32 v3, 0x400, v0
	ds_write2_b64 v3, v[42:43], v[54:55] offset0:72 offset1:172
	v_mad_legacy_u16 v42, v150, s4, v151
	buffer_store_dword v0, off, s[24:27], 0 offset:256 ; 4-byte Folded Spill
	ds_write2_b64 v0, v[44:45], v[50:51] offset1:100
	buffer_store_dword v3, off, s[24:27], 0 offset:232 ; 4-byte Folded Spill
	v_add_u32_e32 v3, 0x800, v0
	v_lshlrev_b32_e32 v0, 3, v42
	buffer_store_dword v3, off, s[24:27], 0 offset:236 ; 4-byte Folded Spill
	ds_write2_b64 v3, v[48:49], v[52:53] offset0:144 offset1:244
	v_add_u32_e32 v3, 0x400, v0
	v_mad_legacy_u16 v42, v152, s4, v153
	v_mul_f32_e32 v162, 0xbf5db3d7, v89
	v_fmac_f32_e32 v163, 0xbf5db3d7, v173
	buffer_store_dword v0, off, s[24:27], 0 offset:260 ; 4-byte Folded Spill
	ds_write2_b64 v0, v[58:59], v[62:63] offset1:100
	buffer_store_dword v3, off, s[24:27], 0 offset:240 ; 4-byte Folded Spill
	ds_write2_b64 v3, v[56:57], v[64:65] offset0:72 offset1:172
	v_add_u32_e32 v3, 0x800, v0
	v_lshlrev_b32_e32 v0, 3, v42
	v_add_f32_e32 v68, v90, v158
	v_add_f32_e32 v66, v40, v161
	v_fmac_f32_e32 v162, 0.5, v67
	v_add_f32_e32 v67, v41, v163
	v_sub_f32_e32 v90, v90, v158
	buffer_store_dword v3, off, s[24:27], 0 offset:244 ; 4-byte Folded Spill
	ds_write2_b64 v3, v[60:61], v[46:47] offset0:144 offset1:244
	v_add_u32_e32 v3, 0x400, v0
	v_add_f32_e32 v89, v71, v162
	v_sub_f32_e32 v40, v40, v161
	v_sub_f32_e32 v71, v71, v162
	;; [unrolled: 1-line block ×3, first 2 shown]
	buffer_store_dword v3, off, s[24:27], 0 offset:248 ; 4-byte Folded Spill
	ds_write2_b64 v3, v[66:67], v[90:91] offset0:72 offset1:172
	v_add_u32_e32 v3, 0x800, v0
	buffer_store_dword v0, off, s[24:27], 0 offset:264 ; 4-byte Folded Spill
	ds_write2_b64 v0, v[68:69], v[88:89] offset1:100
	buffer_store_dword v3, off, s[24:27], 0 offset:252 ; 4-byte Folded Spill
	ds_write2_b64 v3, v[70:71], v[40:41] offset0:144 offset1:244
	s_waitcnt vmcnt(0) lgkmcnt(0)
	s_barrier
	ds_read2_b64 v[136:139], v247 offset1:120
	ds_read2_b64 v[128:131], v190 offset0:96 offset1:216
	ds_read2_b64 v[54:57], v181 offset0:48 offset1:168
	;; [unrolled: 1-line block ×12, first 2 shown]
	v_mov_b32_e32 v190, v185
	v_mad_u64_u32 v[184:185], s[4:5], v238, 40, s[10:11]
	s_movk_i32 s4, 0x1270
	ds_read2_b64 v[148:151], v192 offset0:112 offset1:232
	ds_read2_b64 v[140:143], v2 offset0:32 offset1:152
	v_add_co_u32_e32 v40, vcc, s4, v184
	v_addc_co_u32_e32 v41, vcc, 0, v185, vcc
	v_add_co_u32_e32 v42, vcc, s6, v184
	v_addc_co_u32_e32 v43, vcc, 0, v185, vcc
	global_load_dwordx4 v[44:47], v[42:43], off offset:624
	global_load_dwordx2 v[222:223], v[40:41], off offset:32
	s_nop 0
	global_load_dwordx4 v[40:43], v[40:41], off offset:16
	s_movk_i32 s4, 0x2530
	v_add_co_u32_e32 v52, vcc, s4, v184
	v_addc_co_u32_e32 v53, vcc, 0, v185, vcc
	s_movk_i32 s4, 0x37f0
	v_mov_b32_e32 v188, v186
	s_waitcnt vmcnt(2) lgkmcnt(13)
	v_mul_f32_e32 v48, v131, v45
	v_fma_f32 v162, v130, v44, -v48
	s_waitcnt lgkmcnt(12)
	v_mul_f32_e32 v48, v55, v47
	v_fma_f32 v170, v54, v46, -v48
	s_waitcnt vmcnt(0) lgkmcnt(11)
	v_mul_f32_e32 v48, v155, v41
	v_fma_f32 v160, v154, v40, -v48
	s_waitcnt lgkmcnt(10)
	v_mul_f32_e32 v48, v59, v43
	v_fma_f32 v176, v58, v42, -v48
	s_waitcnt lgkmcnt(9)
	v_mul_f32_e32 v48, v147, v223
	v_fma_f32 v168, v146, v222, -v48
	v_add_co_u32_e32 v48, vcc, s7, v184
	v_mul_f32_e32 v171, v54, v47
	v_addc_co_u32_e32 v49, vcc, 0, v185, vcc
	v_fmac_f32_e32 v171, v55, v46
	global_load_dwordx4 v[48:51], v[48:49], off offset:1328
	s_nop 0
	global_load_dwordx2 v[220:221], v[52:53], off offset:32
	s_nop 0
	global_load_dwordx4 v[52:55], v[52:53], off offset:16
	v_mul_f32_e32 v177, v58, v43
	v_mul_f32_e32 v163, v130, v45
	;; [unrolled: 1-line block ×3, first 2 shown]
	v_fmac_f32_e32 v163, v131, v44
	v_fmac_f32_e32 v177, v59, v42
	;; [unrolled: 1-line block ×3, first 2 shown]
	v_mul_f32_e32 v169, v146, v223
	v_fmac_f32_e32 v169, v147, v222
	s_waitcnt vmcnt(2) lgkmcnt(8)
	v_mul_f32_e32 v58, v63, v49
	v_fma_f32 v130, v62, v48, -v58
	v_mul_f32_e32 v58, v57, v51
	v_fma_f32 v164, v56, v50, -v58
	v_mul_f32_e32 v165, v56, v51
	s_waitcnt vmcnt(0) lgkmcnt(7)
	v_mul_f32_e32 v56, v67, v53
	v_fma_f32 v154, v66, v52, -v56
	v_mul_f32_e32 v56, v61, v55
	v_fma_f32 v182, v60, v54, -v56
	s_waitcnt lgkmcnt(6)
	v_mul_f32_e32 v56, v89, v221
	v_fma_f32 v166, v88, v220, -v56
	v_add_co_u32_e32 v56, vcc, s4, v184
	v_fmac_f32_e32 v165, v57, v50
	v_addc_co_u32_e32 v57, vcc, 0, v185, vcc
	v_add_co_u32_e32 v58, vcc, s14, v184
	v_mul_f32_e32 v131, v62, v49
	v_mul_f32_e32 v183, v60, v55
	v_addc_co_u32_e32 v59, vcc, 0, v185, vcc
	v_fmac_f32_e32 v131, v63, v48
	v_fmac_f32_e32 v183, v61, v54
	global_load_dwordx4 v[60:63], v[58:59], off offset:2032
	global_load_dwordx2 v[218:219], v[56:57], off offset:32
	s_nop 0
	global_load_dwordx4 v[56:59], v[56:57], off offset:16
	v_mul_f32_e32 v155, v66, v53
	s_movk_i32 s4, 0x4ab0
	v_fmac_f32_e32 v155, v67, v52
	v_mul_f32_e32 v167, v88, v221
	v_fmac_f32_e32 v167, v89, v220
	s_waitcnt vmcnt(2)
	v_mul_f32_e32 v66, v65, v61
	v_fma_f32 v146, v64, v60, -v66
	v_mul_f32_e32 v147, v64, v61
	s_waitcnt lgkmcnt(4)
	v_mul_f32_e32 v64, v97, v63
	v_fma_f32 v172, v96, v62, -v64
	s_waitcnt vmcnt(0)
	v_mul_f32_e32 v64, v69, v57
	v_fma_f32 v173, v68, v56, -v64
	s_waitcnt lgkmcnt(3)
	v_mul_f32_e32 v64, v179, v59
	v_fma_f32 v196, v178, v58, -v64
	v_mul_f32_e32 v64, v91, v219
	v_fma_f32 v195, v90, v218, -v64
	v_add_co_u32_e32 v64, vcc, s4, v184
	v_fmac_f32_e32 v147, v65, v60
	v_addc_co_u32_e32 v65, vcc, 0, v185, vcc
	v_add_co_u32_e32 v66, vcc, s15, v184
	v_mul_f32_e32 v175, v68, v57
	v_addc_co_u32_e32 v67, vcc, 0, v185, vcc
	v_fmac_f32_e32 v175, v69, v56
	global_load_dwordx4 v[68:71], v[66:67], off offset:2736
	global_load_dwordx2 v[216:217], v[64:65], off offset:32
	s_nop 0
	global_load_dwordx4 v[64:67], v[64:65], off offset:16
	s_movk_i32 s4, 0x5d70
	v_mul_f32_e32 v197, v90, v219
	v_mul_f32_e32 v174, v96, v63
	v_fmac_f32_e32 v197, v91, v218
	v_fmac_f32_e32 v174, v97, v62
	v_mul_f32_e32 v198, v178, v59
	v_fmac_f32_e32 v198, v179, v58
	s_waitcnt vmcnt(2) lgkmcnt(2)
	v_mul_f32_e32 v88, v157, v69
	v_fma_f32 v193, v156, v68, -v88
	v_mul_f32_e32 v88, v99, v71
	v_fma_f32 v199, v98, v70, -v88
	s_waitcnt vmcnt(0) lgkmcnt(1)
	v_mul_f32_e32 v88, v149, v65
	v_fma_f32 v201, v148, v64, -v88
	v_mul_f32_e32 v148, v148, v65
	v_mul_f32_e32 v88, v181, v67
	v_fmac_f32_e32 v148, v149, v64
	v_fma_f32 v149, v180, v66, -v88
	s_waitcnt lgkmcnt(0)
	v_mul_f32_e32 v88, v141, v217
	v_fma_f32 v203, v140, v216, -v88
	v_add_co_u32_e32 v88, vcc, s4, v184
	v_addc_co_u32_e32 v89, vcc, 0, v185, vcc
	v_add_co_u32_e32 v90, vcc, s16, v184
	v_mul_f32_e32 v200, v98, v71
	v_addc_co_u32_e32 v91, vcc, 0, v185, vcc
	v_fmac_f32_e32 v200, v99, v70
	global_load_dwordx4 v[96:99], v[90:91], off offset:3440
	global_load_dwordx2 v[212:213], v[88:89], off offset:32
	s_nop 0
	global_load_dwordx4 v[88:91], v[88:89], off offset:16
	v_mul_f32_e32 v204, v140, v217
	v_fmac_f32_e32 v204, v141, v216
	v_mul_f32_e32 v194, v156, v69
	v_fmac_f32_e32 v194, v157, v68
	v_add_f32_e32 v157, v161, v169
	v_mul_f32_e32 v202, v180, v67
	v_fmac_f32_e32 v202, v181, v66
	s_waitcnt vmcnt(2)
	v_mul_f32_e32 v140, v159, v97
	v_fma_f32 v205, v158, v96, -v140
	v_mul_f32_e32 v140, v153, v99
	v_fma_f32 v207, v152, v98, -v140
	s_waitcnt vmcnt(0)
	v_mul_f32_e32 v140, v151, v89
	v_mul_f32_e32 v141, v144, v91
	v_fma_f32 v0, v150, v88, -v140
	v_mul_f32_e32 v140, v145, v91
	v_fmac_f32_e32 v141, v145, v90
	v_mul_f32_e32 v145, v142, v213
	v_fma_f32 v140, v144, v90, -v140
	v_mul_f32_e32 v144, v143, v213
	v_fmac_f32_e32 v145, v143, v212
	v_add_f32_e32 v143, v170, v176
	v_mul_f32_e32 v3, v150, v89
	v_fma_f32 v144, v142, v212, -v144
	v_add_f32_e32 v142, v136, v170
	v_fma_f32 v136, -0.5, v143, v136
	v_fmac_f32_e32 v3, v151, v88
	v_sub_f32_e32 v143, v171, v177
	v_mov_b32_e32 v150, v136
	v_add_f32_e32 v151, v171, v177
	v_mul_f32_e32 v245, v152, v99
	v_fmac_f32_e32 v150, 0x3f5db3d7, v143
	v_fmac_f32_e32 v136, 0xbf5db3d7, v143
	v_add_f32_e32 v143, v137, v171
	v_fma_f32 v137, -0.5, v151, v137
	v_fmac_f32_e32 v245, v153, v98
	v_sub_f32_e32 v151, v170, v176
	v_mov_b32_e32 v152, v137
	v_add_f32_e32 v153, v160, v168
	v_fmac_f32_e32 v152, 0xbf5db3d7, v151
	v_fmac_f32_e32 v137, 0x3f5db3d7, v151
	v_add_f32_e32 v151, v162, v160
	v_fmac_f32_e32 v162, -0.5, v153
	v_sub_f32_e32 v153, v161, v169
	v_mov_b32_e32 v156, v162
	v_fmac_f32_e32 v156, 0x3f5db3d7, v153
	v_fmac_f32_e32 v162, 0xbf5db3d7, v153
	v_add_f32_e32 v153, v163, v161
	v_fmac_f32_e32 v163, -0.5, v157
	v_mul_f32_e32 v206, v158, v97
	v_sub_f32_e32 v157, v160, v168
	v_mov_b32_e32 v158, v163
	v_fmac_f32_e32 v158, 0xbf5db3d7, v157
	v_fmac_f32_e32 v163, 0x3f5db3d7, v157
	v_mul_f32_e32 v157, 0x3f5db3d7, v158
	v_fmac_f32_e32 v157, 0.5, v156
	v_mul_f32_e32 v156, 0xbf5db3d7, v156
	v_fmac_f32_e32 v156, 0.5, v158
	v_mul_f32_e32 v158, -0.5, v163
	v_fmac_f32_e32 v158, 0xbf5db3d7, v162
	v_fmac_f32_e32 v206, v159, v96
	v_add_f32_e32 v143, v143, v177
	v_add_f32_e32 v153, v153, v169
	v_mul_f32_e32 v159, -0.5, v162
	v_add_f32_e32 v169, v137, v158
	v_sub_f32_e32 v177, v137, v158
	v_add_f32_e32 v137, v164, v182
	v_add_f32_e32 v142, v142, v176
	;; [unrolled: 1-line block ×3, first 2 shown]
	v_fmac_f32_e32 v159, 0x3f5db3d7, v163
	v_fma_f32 v137, -0.5, v137, v138
	v_add_f32_e32 v160, v142, v151
	v_add_f32_e32 v168, v136, v159
	;; [unrolled: 1-line block ×3, first 2 shown]
	v_sub_f32_e32 v180, v142, v151
	v_sub_f32_e32 v176, v136, v159
	;; [unrolled: 1-line block ×3, first 2 shown]
	v_add_f32_e32 v136, v138, v164
	v_sub_f32_e32 v138, v165, v183
	v_mov_b32_e32 v142, v137
	v_add_f32_e32 v143, v165, v183
	v_fmac_f32_e32 v142, 0x3f5db3d7, v138
	v_fmac_f32_e32 v137, 0xbf5db3d7, v138
	v_add_f32_e32 v138, v139, v165
	v_fmac_f32_e32 v139, -0.5, v143
	v_add_f32_e32 v170, v150, v157
	v_sub_f32_e32 v178, v150, v157
	v_sub_f32_e32 v143, v164, v182
	v_mov_b32_e32 v150, v139
	v_add_f32_e32 v151, v154, v166
	v_fmac_f32_e32 v150, 0xbf5db3d7, v143
	v_fmac_f32_e32 v139, 0x3f5db3d7, v143
	v_add_f32_e32 v143, v130, v154
	v_fmac_f32_e32 v130, -0.5, v151
	v_add_f32_e32 v171, v152, v156
	v_sub_f32_e32 v179, v152, v156
	v_sub_f32_e32 v151, v155, v167
	v_mov_b32_e32 v152, v130
	v_add_f32_e32 v153, v155, v167
	v_fmac_f32_e32 v152, 0x3f5db3d7, v151
	v_fmac_f32_e32 v130, 0xbf5db3d7, v151
	v_add_f32_e32 v151, v131, v155
	v_fmac_f32_e32 v131, -0.5, v153
	v_sub_f32_e32 v153, v154, v166
	v_mov_b32_e32 v154, v131
	v_fmac_f32_e32 v154, 0xbf5db3d7, v153
	v_fmac_f32_e32 v131, 0x3f5db3d7, v153
	v_mul_f32_e32 v155, -0.5, v130
	v_mul_f32_e32 v153, 0x3f5db3d7, v154
	v_fmac_f32_e32 v155, 0x3f5db3d7, v131
	v_mul_f32_e32 v131, -0.5, v131
	v_fmac_f32_e32 v153, 0.5, v152
	v_mul_f32_e32 v152, 0xbf5db3d7, v152
	v_fmac_f32_e32 v131, 0xbf5db3d7, v130
	v_add_f32_e32 v158, v137, v155
	v_fmac_f32_e32 v152, 0.5, v154
	v_add_f32_e32 v159, v139, v131
	v_sub_f32_e32 v154, v137, v155
	v_sub_f32_e32 v155, v139, v131
	v_add_f32_e32 v131, v172, v196
	v_add_f32_e32 v136, v136, v182
	;; [unrolled: 1-line block ×3, first 2 shown]
	v_fma_f32 v131, -0.5, v131, v132
	v_add_f32_e32 v184, v136, v143
	v_sub_f32_e32 v186, v136, v143
	v_add_f32_e32 v130, v132, v172
	v_sub_f32_e32 v132, v174, v198
	v_mov_b32_e32 v136, v131
	v_add_f32_e32 v137, v174, v198
	v_add_f32_e32 v138, v138, v183
	;; [unrolled: 1-line block ×3, first 2 shown]
	v_fmac_f32_e32 v136, 0x3f5db3d7, v132
	v_fmac_f32_e32 v131, 0xbf5db3d7, v132
	v_add_f32_e32 v132, v133, v174
	v_fma_f32 v133, -0.5, v137, v133
	v_add_f32_e32 v185, v138, v151
	v_sub_f32_e32 v187, v138, v151
	v_sub_f32_e32 v137, v172, v196
	v_mov_b32_e32 v138, v133
	v_add_f32_e32 v139, v173, v195
	v_fmac_f32_e32 v138, 0xbf5db3d7, v137
	v_fmac_f32_e32 v133, 0x3f5db3d7, v137
	v_add_f32_e32 v137, v146, v173
	v_fmac_f32_e32 v146, -0.5, v139
	v_add_f32_e32 v166, v142, v153
	v_sub_f32_e32 v156, v142, v153
	v_sub_f32_e32 v139, v175, v197
	v_mov_b32_e32 v142, v146
	v_add_f32_e32 v143, v175, v197
	v_fmac_f32_e32 v142, 0x3f5db3d7, v139
	v_fmac_f32_e32 v146, 0xbf5db3d7, v139
	v_add_f32_e32 v139, v147, v175
	v_fmac_f32_e32 v147, -0.5, v143
	v_sub_f32_e32 v143, v173, v195
	v_add_f32_e32 v167, v150, v152
	v_sub_f32_e32 v157, v150, v152
	v_add_f32_e32 v130, v130, v196
	v_add_f32_e32 v137, v137, v195
	v_mov_b32_e32 v150, v147
	v_fmac_f32_e32 v147, 0x3f5db3d7, v143
	v_mul_f32_e32 v151, -0.5, v146
	v_add_f32_e32 v132, v132, v198
	v_add_f32_e32 v139, v139, v197
	;; [unrolled: 1-line block ×3, first 2 shown]
	v_fmac_f32_e32 v151, 0x3f5db3d7, v147
	v_mul_f32_e32 v147, -0.5, v147
	v_sub_f32_e32 v195, v130, v137
	v_add_f32_e32 v130, v134, v199
	v_add_f32_e32 v153, v132, v139
	v_fmac_f32_e32 v147, 0xbf5db3d7, v146
	v_sub_f32_e32 v196, v132, v139
	v_add_f32_e32 v132, v130, v149
	v_add_f32_e32 v130, v199, v149
	v_fmac_f32_e32 v150, 0xbf5db3d7, v143
	v_add_f32_e32 v175, v133, v147
	v_sub_f32_e32 v165, v133, v147
	v_fma_f32 v133, -0.5, v130, v134
	v_mul_f32_e32 v143, 0x3f5db3d7, v150
	v_sub_f32_e32 v130, v200, v202
	v_mov_b32_e32 v134, v133
	v_fmac_f32_e32 v143, 0.5, v142
	v_fmac_f32_e32 v134, 0x3f5db3d7, v130
	v_fmac_f32_e32 v133, 0xbf5db3d7, v130
	v_add_f32_e32 v130, v135, v200
	v_add_f32_e32 v182, v136, v143
	v_sub_f32_e32 v172, v136, v143
	v_add_f32_e32 v136, v130, v202
	v_add_f32_e32 v130, v200, v202
	v_fmac_f32_e32 v135, -0.5, v130
	v_mul_f32_e32 v142, 0xbf5db3d7, v142
	v_sub_f32_e32 v130, v199, v149
	v_mov_b32_e32 v137, v135
	v_fmac_f32_e32 v142, 0.5, v150
	v_fmac_f32_e32 v137, 0xbf5db3d7, v130
	v_fmac_f32_e32 v135, 0x3f5db3d7, v130
	v_add_f32_e32 v130, v193, v201
	v_add_f32_e32 v183, v138, v142
	v_sub_f32_e32 v173, v138, v142
	v_add_f32_e32 v138, v130, v203
	v_add_f32_e32 v130, v201, v203
	v_fmac_f32_e32 v193, -0.5, v130
	v_add_f32_e32 v174, v131, v151
	v_sub_f32_e32 v164, v131, v151
	v_sub_f32_e32 v130, v148, v204
	v_mov_b32_e32 v131, v193
	v_fmac_f32_e32 v131, 0x3f5db3d7, v130
	v_fmac_f32_e32 v193, 0xbf5db3d7, v130
	v_add_f32_e32 v130, v194, v148
	v_add_f32_e32 v139, v130, v204
	;; [unrolled: 1-line block ×3, first 2 shown]
	v_fmac_f32_e32 v194, -0.5, v130
	v_sub_f32_e32 v130, v201, v203
	v_mov_b32_e32 v142, v194
	v_fmac_f32_e32 v142, 0xbf5db3d7, v130
	v_fmac_f32_e32 v194, 0x3f5db3d7, v130
	v_mul_f32_e32 v143, 0x3f5db3d7, v142
	v_add_f32_e32 v162, v132, v138
	v_fmac_f32_e32 v143, 0.5, v131
	v_mul_f32_e32 v197, -0.5, v194
	v_sub_f32_e32 v150, v132, v138
	v_add_f32_e32 v132, v128, v207
	v_add_f32_e32 v130, v134, v143
	v_mul_f32_e32 v146, -0.5, v193
	v_fmac_f32_e32 v197, 0xbf5db3d7, v193
	v_sub_f32_e32 v193, v134, v143
	v_add_f32_e32 v134, v132, v140
	v_add_f32_e32 v132, v207, v140
	v_fma_f32 v128, -0.5, v132, v128
	v_mul_f32_e32 v147, 0xbf5db3d7, v131
	v_add_f32_e32 v149, v135, v197
	v_sub_f32_e32 v143, v135, v197
	v_sub_f32_e32 v132, v245, v141
	v_mov_b32_e32 v135, v128
	v_fmac_f32_e32 v147, 0.5, v142
	v_fmac_f32_e32 v135, 0x3f5db3d7, v132
	v_fmac_f32_e32 v128, 0xbf5db3d7, v132
	v_add_f32_e32 v132, v129, v245
	v_fmac_f32_e32 v146, 0x3f5db3d7, v194
	v_add_f32_e32 v131, v137, v147
	v_sub_f32_e32 v194, v137, v147
	v_add_f32_e32 v137, v132, v141
	v_add_f32_e32 v132, v245, v141
	v_fmac_f32_e32 v129, -0.5, v132
	v_sub_f32_e32 v132, v207, v140
	v_mov_b32_e32 v140, v129
	v_fmac_f32_e32 v140, 0xbf5db3d7, v132
	v_fmac_f32_e32 v129, 0x3f5db3d7, v132
	v_add_f32_e32 v132, v205, v0
	v_add_f32_e32 v163, v136, v139
	v_sub_f32_e32 v151, v136, v139
	v_add_f32_e32 v136, v132, v144
	v_add_f32_e32 v132, v0, v144
	v_fmac_f32_e32 v205, -0.5, v132
	v_add_f32_e32 v148, v133, v146
	v_sub_f32_e32 v142, v133, v146
	v_sub_f32_e32 v132, v3, v145
	v_mov_b32_e32 v133, v205
	v_fmac_f32_e32 v133, 0x3f5db3d7, v132
	v_fmac_f32_e32 v205, 0xbf5db3d7, v132
	v_add_f32_e32 v132, v206, v3
	v_add_f32_e32 v3, v3, v145
	v_fmac_f32_e32 v206, -0.5, v3
	v_sub_f32_e32 v0, v0, v144
	v_mov_b32_e32 v3, v206
	v_fmac_f32_e32 v3, 0xbf5db3d7, v0
	v_fmac_f32_e32 v206, 0x3f5db3d7, v0
	v_mul_f32_e32 v0, 0x3f5db3d7, v3
	v_add_f32_e32 v141, v132, v145
	v_fmac_f32_e32 v0, 0.5, v133
	v_mul_f32_e32 v145, 0xbf5db3d7, v133
	v_add_f32_e32 v146, v134, v136
	v_add_f32_e32 v138, v135, v0
	v_mul_f32_e32 v144, -0.5, v205
	v_fmac_f32_e32 v145, 0.5, v3
	v_mul_f32_e32 v3, -0.5, v206
	v_sub_f32_e32 v136, v134, v136
	v_sub_f32_e32 v134, v135, v0
	v_add_u32_e32 v0, 0x2800, v247
	v_fmac_f32_e32 v144, 0x3f5db3d7, v206
	v_fmac_f32_e32 v3, 0xbf5db3d7, v205
	ds_write_b64 v247, v[170:171] offset:4800
	ds_write_b64 v247, v[168:169] offset:9600
	;; [unrolled: 1-line block ×5, first 2 shown]
	ds_write2_b64 v247, v[160:161], v[184:185] offset1:120
	ds_write_b64 v247, v[186:187] offset:15360
	ds_write2_b64 v189, v[166:167], v[182:183] offset0:80 offset1:200
	ds_write2_b64 v0, v[158:159], v[174:175] offset0:40 offset1:160
	v_mov_b32_e32 v197, v0
	v_add_u32_e32 v0, 0x4c00, v247
	v_add_f32_e32 v132, v128, v144
	v_add_f32_e32 v133, v129, v3
	v_sub_f32_e32 v128, v128, v144
	v_sub_f32_e32 v129, v129, v3
	ds_write2_b64 v0, v[156:157], v[172:173] offset0:88 offset1:208
	v_mov_b32_e32 v198, v0
	v_add_u32_e32 v0, 0x3c00, v247
	v_add_f32_e32 v147, v137, v141
	v_add_f32_e32 v139, v140, v145
	v_sub_f32_e32 v137, v137, v141
	v_sub_f32_e32 v135, v140, v145
	ds_write2_b64 v1, v[154:155], v[164:165] offset0:48 offset1:168
	ds_write2_b64 v188, v[152:153], v[162:163] offset0:112 offset1:232
	ds_write_b64 v247, v[148:149] offset:12480
	ds_write2_b64 v0, v[195:196], v[150:151] offset0:120 offset1:240
	ds_write_b64 v247, v[193:194] offset:22080
	ds_write_b64 v247, v[142:143] offset:26880
	;; [unrolled: 1-line block ×3, first 2 shown]
	ds_write2_b64 v190, v[130:131], v[138:139] offset0:64 offset1:184
	ds_write_b64 v247, v[132:133] offset:13440
	ds_write_b64 v247, v[136:137] offset:18240
	;; [unrolled: 1-line block ×4, first 2 shown]
	s_waitcnt lgkmcnt(0)
	s_barrier
	global_load_dwordx2 v[128:129], v247, s[2:3]
	ds_read2_b64 v[158:161], v247 offset1:120
	v_mov_b32_e32 v195, v0
	v_add_co_u32_e32 v0, vcc, s2, v247
	v_mov_b32_e32 v3, s3
	v_addc_co_u32_e32 v3, vcc, 0, v3, vcc
	v_add_co_u32_e32 v154, vcc, s6, v0
	v_addc_co_u32_e32 v155, vcc, 0, v3, vcc
	v_add_co_u32_e32 v152, vcc, s7, v0
	;; [unrolled: 2-line block ×3, first 2 shown]
	v_addc_co_u32_e32 v149, vcc, 0, v3, vcc
	v_mov_b32_e32 v196, v191
	v_mov_b32_e32 v201, v240
	v_mov_b32_e32 v202, v189
	v_mov_b32_e32 v200, v192
	v_mov_b32_e32 v245, v190
	s_waitcnt vmcnt(0) lgkmcnt(0)
	v_mul_f32_e32 v130, v159, v129
	v_mul_f32_e32 v131, v158, v129
	v_fma_f32 v130, v158, v128, -v130
	v_fmac_f32_e32 v131, v159, v128
	global_load_dwordx2 v[128:129], v247, s[2:3] offset:2880
	ds_write_b64 v247, v[130:131]
	ds_read2_b64 v[144:147], v188 offset0:112 offset1:232
	ds_read2_b64 v[162:165], v189 offset0:80 offset1:200
	;; [unrolled: 1-line block ×8, first 2 shown]
	v_add_u32_e32 v191, 0xc00, v247
	v_add_u32_e32 v240, 0x2400, v247
	v_mov_b32_e32 v189, v1
	s_waitcnt vmcnt(0) lgkmcnt(7)
	v_mul_f32_e32 v130, v147, v129
	v_mul_f32_e32 v179, v146, v129
	v_fma_f32 v178, v146, v128, -v130
	v_fmac_f32_e32 v179, v147, v128
	global_load_dwordx2 v[128:129], v[154:155], off offset:1664
	s_waitcnt vmcnt(0) lgkmcnt(6)
	v_mul_f32_e32 v130, v163, v129
	v_mul_f32_e32 v159, v162, v129
	v_fma_f32 v158, v162, v128, -v130
	v_fmac_f32_e32 v159, v163, v128
	global_load_dwordx2 v[128:129], v[152:153], off offset:448
	;; [unrolled: 6-line block ×3, first 2 shown]
	v_add_co_u32_e32 v142, vcc, s15, v0
	v_addc_co_u32_e32 v143, vcc, 0, v3, vcc
	v_add_co_u32_e32 v146, vcc, s16, v0
	v_addc_co_u32_e32 v147, vcc, 0, v3, vcc
	s_waitcnt vmcnt(0) lgkmcnt(4)
	v_mul_f32_e32 v130, v167, v129
	v_mul_f32_e32 v157, v166, v129
	v_fma_f32 v156, v166, v128, -v130
	v_fmac_f32_e32 v157, v167, v128
	global_load_dwordx2 v[128:129], v[148:149], off offset:2112
	s_waitcnt vmcnt(0) lgkmcnt(3)
	v_mul_f32_e32 v130, v139, v129
	v_mul_f32_e32 v183, v138, v129
	v_fma_f32 v182, v138, v128, -v130
	v_fmac_f32_e32 v183, v139, v128
	global_load_dwordx2 v[128:129], v[142:143], off offset:896
	;; [unrolled: 6-line block ×4, first 2 shown]
	v_add_co_u32_e32 v134, vcc, s17, v0
	v_addc_co_u32_e32 v135, vcc, 0, v3, vcc
	global_load_dwordx2 v[162:163], v[134:135], off offset:1344
	v_mov_b32_e32 v3, v2
	s_waitcnt vmcnt(1) lgkmcnt(0)
	v_mul_f32_e32 v130, v175, v129
	v_mul_f32_e32 v139, v174, v129
	v_fma_f32 v138, v174, v128, -v130
	v_fmac_f32_e32 v139, v175, v128
	ds_read2_b64 v[128:131], v1 offset0:48 offset1:168
	v_add_u32_e32 v1, 0x3800, v247
	s_waitcnt vmcnt(0) lgkmcnt(0)
	v_mul_f32_e32 v0, v131, v163
	v_mul_f32_e32 v187, v130, v163
	v_fma_f32 v186, v130, v162, -v0
	v_fmac_f32_e32 v187, v131, v162
	global_load_dwordx2 v[130:131], v247, s[2:3] offset:960
	s_waitcnt vmcnt(0)
	v_mul_f32_e32 v0, v161, v131
	v_mul_f32_e32 v194, v160, v131
	v_fma_f32 v193, v160, v130, -v0
	v_fmac_f32_e32 v194, v161, v130
	global_load_dwordx2 v[130:131], v247, s[2:3] offset:3840
	ds_read2_b64 v[160:163], v191 offset0:96 offset1:216
	s_waitcnt vmcnt(0) lgkmcnt(0)
	v_mul_f32_e32 v0, v161, v131
	v_mul_f32_e32 v167, v160, v131
	v_fma_f32 v166, v160, v130, -v0
	v_fmac_f32_e32 v167, v161, v130
	global_load_dwordx2 v[130:131], v[154:155], off offset:2624
	v_add_u32_e32 v0, 0x800, v247
	ds_write2_b64 v0, v[178:179], v[166:167] offset0:104 offset1:224
	s_waitcnt vmcnt(0)
	v_mul_f32_e32 v0, v165, v131
	v_mul_f32_e32 v161, v164, v131
	v_fma_f32 v160, v164, v130, -v0
	v_fmac_f32_e32 v161, v165, v130
	global_load_dwordx2 v[130:131], v[152:153], off offset:1408
	ds_read2_b64 v[164:167], v240 offset0:48 offset1:168
	s_waitcnt vmcnt(0) lgkmcnt(0)
	v_mul_f32_e32 v0, v165, v131
	v_mul_f32_e32 v171, v164, v131
	v_fma_f32 v170, v164, v130, -v0
	v_fmac_f32_e32 v171, v165, v130
	global_load_dwordx2 v[130:131], v[148:149], off offset:192
	v_add_u32_e32 v0, 0x2000, v247
	ds_write2_b64 v0, v[180:181], v[170:171] offset0:56 offset1:176
	s_waitcnt vmcnt(0)
	v_mul_f32_e32 v0, v169, v131
	v_fma_f32 v164, v168, v130, -v0
	buffer_load_dword v0, off, s[24:27], 0 offset:268 ; 4-byte Folded Reload
	v_mul_f32_e32 v165, v168, v131
	v_fmac_f32_e32 v165, v169, v130
	ds_read2_b64 v[168:171], v1 offset0:128 offset1:248
	s_waitcnt vmcnt(0)
	global_load_dwordx2 v[130:131], v0, s[2:3]
	s_waitcnt vmcnt(0) lgkmcnt(0)
	v_mul_f32_e32 v0, v169, v131
	v_mul_f32_e32 v175, v168, v131
	v_fma_f32 v174, v168, v130, -v0
	v_fmac_f32_e32 v175, v169, v130
	global_load_dwordx2 v[130:131], v[142:143], off offset:1856
	ds_write2_b64 v1, v[182:183], v[174:175] offset0:8 offset1:128
	v_mov_b32_e32 v182, v239
	s_waitcnt vmcnt(0)
	v_mul_f32_e32 v0, v173, v131
	v_mul_f32_e32 v169, v172, v131
	v_fma_f32 v168, v172, v130, -v0
	v_fmac_f32_e32 v169, v173, v130
	global_load_dwordx2 v[130:131], v[146:147], off offset:640
	ds_read2_b64 v[172:175], v239 offset0:80 offset1:200
	v_mov_b32_e32 v239, v201
	s_waitcnt vmcnt(0) lgkmcnt(0)
	v_mul_f32_e32 v0, v173, v131
	v_mul_f32_e32 v179, v172, v131
	v_fma_f32 v178, v172, v130, -v0
	v_fmac_f32_e32 v179, v173, v130
	global_load_dwordx2 v[130:131], v[146:147], off offset:3520
	ds_write2_b64 v198, v[184:185], v[178:179] offset0:88 offset1:208
	s_waitcnt vmcnt(0)
	v_mul_f32_e32 v0, v177, v131
	v_mul_f32_e32 v173, v176, v131
	v_fma_f32 v172, v176, v130, -v0
	v_fmac_f32_e32 v173, v177, v130
	global_load_dwordx2 v[130:131], v[134:135], off offset:2304
	ds_read2_b64 v[176:179], v2 offset0:32 offset1:152
	v_mov_b32_e32 v2, v242
	s_waitcnt vmcnt(0) lgkmcnt(0)
	v_mul_f32_e32 v0, v177, v131
	v_mul_f32_e32 v181, v176, v131
	v_fma_f32 v180, v176, v130, -v0
	v_fmac_f32_e32 v181, v177, v130
	global_load_dwordx2 v[130:131], v247, s[2:3] offset:1920
	v_add_u32_e32 v0, 0x6400, v247
	ds_write2_b64 v0, v[186:187], v[180:181] offset0:40 offset1:160
	s_mov_b32 s2, 0x789abcdf
	s_mov_b32 s3, 0x3f323456
	s_waitcnt vmcnt(0)
	v_mul_f32_e32 v0, v145, v131
	v_mul_f32_e32 v177, v144, v131
	v_fma_f32 v176, v144, v130, -v0
	v_fmac_f32_e32 v177, v145, v130
	global_load_dwordx2 v[130:131], v[154:155], off offset:704
	ds_write2_b64 v247, v[193:194], v[176:177] offset0:120 offset1:240
	s_waitcnt vmcnt(0)
	v_mul_f32_e32 v0, v163, v131
	v_mul_f32_e32 v145, v162, v131
	v_fma_f32 v144, v162, v130, -v0
	v_fmac_f32_e32 v145, v163, v130
	global_load_dwordx2 v[130:131], v[154:155], off offset:3584
	v_add_u32_e32 v0, 0x1000, v247
	ds_write2_b64 v0, v[144:145], v[158:159] offset0:88 offset1:208
	s_waitcnt vmcnt(0)
	v_mul_f32_e32 v0, v141, v131
	v_mul_f32_e32 v145, v140, v131
	v_fma_f32 v144, v140, v130, -v0
	v_fmac_f32_e32 v145, v141, v130
	global_load_dwordx2 v[130:131], v[152:153], off offset:2368
	v_add_u32_e32 v0, 0x1800, v247
	ds_write2_b64 v0, v[160:161], v[144:145] offset0:72 offset1:192
	s_waitcnt vmcnt(0)
	v_mul_f32_e32 v0, v167, v131
	v_mul_f32_e32 v141, v166, v131
	v_fma_f32 v140, v166, v130, -v0
	v_fmac_f32_e32 v141, v167, v130
	global_load_dwordx2 v[130:131], v[148:149], off offset:1152
	ds_write2_b64 v197, v[140:141], v[156:157] offset0:40 offset1:160
	s_waitcnt vmcnt(0)
	v_mul_f32_e32 v0, v137, v131
	v_mul_f32_e32 v141, v136, v131
	v_fma_f32 v140, v136, v130, -v0
	v_fmac_f32_e32 v141, v137, v130
	global_load_dwordx2 v[130:131], v[148:149], off offset:4032
	v_add_u32_e32 v0, 0x3000, v247
	ds_write2_b64 v0, v[164:165], v[140:141] offset0:24 offset1:144
	s_waitcnt vmcnt(0)
	v_mul_f32_e32 v0, v171, v131
	v_mul_f32_e32 v137, v170, v131
	v_fma_f32 v136, v170, v130, -v0
	v_fmac_f32_e32 v137, v171, v130
	global_load_dwordx2 v[130:131], v[142:143], off offset:2816
	;; [unrolled: 15-line block ×3, first 2 shown]
	v_add_u32_e32 v0, 0x5400, v247
	ds_write2_b64 v0, v[132:133], v[138:139] offset0:72 offset1:192
	s_waitcnt vmcnt(0)
	v_mul_f32_e32 v0, v129, v131
	v_mul_f32_e32 v133, v128, v131
	v_fma_f32 v132, v128, v130, -v0
	v_fmac_f32_e32 v133, v129, v130
	global_load_dwordx2 v[128:129], v[134:135], off offset:3264
	v_add_u32_e32 v0, 0x5c00, v247
	ds_write2_b64 v0, v[172:173], v[132:133] offset0:56 offset1:176
	s_waitcnt vmcnt(0)
	v_mul_f32_e32 v0, v179, v129
	v_mul_f32_e32 v131, v178, v129
	v_fma_f32 v130, v178, v128, -v0
	v_fmac_f32_e32 v131, v179, v128
	ds_write_b64 v247, v[130:131] offset:27840
	s_waitcnt lgkmcnt(0)
	s_barrier
	ds_read2_b64 v[148:151], v247 offset1:120
	ds_read2_b64 v[128:131], v188 offset0:112 offset1:232
	ds_read2_b64 v[152:155], v202 offset0:80 offset1:200
	;; [unrolled: 1-line block ×8, first 2 shown]
	s_waitcnt lgkmcnt(6)
	v_add_f32_e32 v0, v148, v152
	ds_read2_b64 v[204:207], v189 offset0:48 offset1:168
	ds_read2_b64 v[132:135], v191 offset0:96 offset1:216
	s_waitcnt lgkmcnt(6)
	v_add_f32_e32 v0, v0, v156
	s_waitcnt lgkmcnt(4)
	v_add_f32_e32 v0, v0, v160
	;; [unrolled: 2-line block ×3, first 2 shown]
	v_add_f32_e32 v0, v156, v160
	v_fma_f32 v167, -0.5, v0, v148
	v_sub_f32_e32 v0, v153, v171
	v_mov_b32_e32 v174, v167
	v_mov_b32_e32 v242, v191
	ds_read2_b64 v[136:139], v240 offset0:48 offset1:168
	ds_read2_b64 v[140:143], v1 offset0:128 offset1:248
	;; [unrolled: 1-line block ×4, first 2 shown]
	v_fmac_f32_e32 v174, 0xbf737871, v0
	v_sub_f32_e32 v3, v157, v161
	v_sub_f32_e32 v164, v152, v156
	;; [unrolled: 1-line block ×3, first 2 shown]
	v_fmac_f32_e32 v167, 0x3f737871, v0
	v_fmac_f32_e32 v174, 0xbf167918, v3
	v_add_f32_e32 v164, v164, v165
	v_fmac_f32_e32 v167, 0x3f167918, v3
	v_fmac_f32_e32 v174, 0x3e9e377a, v164
	;; [unrolled: 1-line block ×3, first 2 shown]
	v_add_f32_e32 v164, v152, v170
	v_fma_f32 v148, -0.5, v164, v148
	v_mov_b32_e32 v175, v148
	v_fmac_f32_e32 v175, 0x3f737871, v3
	v_fmac_f32_e32 v148, 0xbf737871, v3
	v_add_f32_e32 v3, v157, v161
	v_sub_f32_e32 v164, v156, v152
	v_sub_f32_e32 v165, v160, v170
	v_fma_f32 v3, -0.5, v3, v149
	v_fmac_f32_e32 v175, 0xbf167918, v0
	v_add_f32_e32 v164, v164, v165
	v_fmac_f32_e32 v148, 0x3f167918, v0
	v_sub_f32_e32 v152, v152, v170
	v_mov_b32_e32 v177, v3
	v_fmac_f32_e32 v175, 0x3e9e377a, v164
	v_fmac_f32_e32 v148, 0x3e9e377a, v164
	v_fmac_f32_e32 v177, 0x3f737871, v152
	v_sub_f32_e32 v156, v156, v160
	v_sub_f32_e32 v160, v153, v157
	;; [unrolled: 1-line block ×3, first 2 shown]
	v_fmac_f32_e32 v3, 0xbf737871, v152
	v_fmac_f32_e32 v177, 0x3f167918, v156
	v_add_f32_e32 v160, v160, v164
	v_fmac_f32_e32 v3, 0xbf167918, v156
	v_fmac_f32_e32 v177, 0x3e9e377a, v160
	;; [unrolled: 1-line block ×3, first 2 shown]
	v_add_f32_e32 v160, v153, v171
	v_add_f32_e32 v0, v149, v153
	v_fma_f32 v149, -0.5, v160, v149
	v_mov_b32_e32 v160, v149
	v_add_f32_e32 v0, v0, v157
	v_fmac_f32_e32 v160, 0xbf737871, v156
	v_sub_f32_e32 v153, v157, v153
	v_sub_f32_e32 v157, v161, v171
	v_fmac_f32_e32 v149, 0x3f737871, v156
	v_fmac_f32_e32 v160, 0x3f167918, v152
	v_add_f32_e32 v153, v153, v157
	v_fmac_f32_e32 v149, 0xbf167918, v152
	v_fmac_f32_e32 v160, 0x3e9e377a, v153
	;; [unrolled: 1-line block ×3, first 2 shown]
	v_add_f32_e32 v153, v198, v202
	v_fma_f32 v153, -0.5, v153, v130
	s_waitcnt lgkmcnt(5)
	v_sub_f32_e32 v156, v195, v207
	v_mov_b32_e32 v157, v153
	v_add_f32_e32 v0, v0, v161
	v_fmac_f32_e32 v157, 0xbf737871, v156
	v_sub_f32_e32 v161, v199, v203
	v_sub_f32_e32 v164, v194, v198
	;; [unrolled: 1-line block ×3, first 2 shown]
	v_fmac_f32_e32 v153, 0x3f737871, v156
	v_fmac_f32_e32 v157, 0xbf167918, v161
	v_add_f32_e32 v164, v164, v165
	v_fmac_f32_e32 v153, 0x3f167918, v161
	v_fmac_f32_e32 v157, 0x3e9e377a, v164
	;; [unrolled: 1-line block ×3, first 2 shown]
	v_add_f32_e32 v164, v194, v206
	v_add_f32_e32 v152, v130, v194
	v_fma_f32 v130, -0.5, v164, v130
	v_mov_b32_e32 v165, v130
	v_fmac_f32_e32 v165, 0x3f737871, v161
	v_sub_f32_e32 v164, v198, v194
	v_sub_f32_e32 v168, v202, v206
	v_fmac_f32_e32 v130, 0xbf737871, v161
	v_add_f32_e32 v161, v199, v203
	v_fmac_f32_e32 v165, 0xbf167918, v156
	v_add_f32_e32 v164, v164, v168
	v_fmac_f32_e32 v130, 0x3f167918, v156
	v_fma_f32 v161, -0.5, v161, v131
	v_fmac_f32_e32 v165, 0x3e9e377a, v164
	v_fmac_f32_e32 v130, 0x3e9e377a, v164
	v_sub_f32_e32 v164, v194, v206
	v_mov_b32_e32 v169, v161
	v_add_f32_e32 v0, v0, v171
	v_fmac_f32_e32 v169, 0x3f737871, v164
	v_sub_f32_e32 v168, v198, v202
	v_sub_f32_e32 v170, v195, v199
	;; [unrolled: 1-line block ×3, first 2 shown]
	v_fmac_f32_e32 v161, 0xbf737871, v164
	v_fmac_f32_e32 v169, 0x3f167918, v168
	v_add_f32_e32 v170, v170, v171
	v_fmac_f32_e32 v161, 0xbf167918, v168
	v_fmac_f32_e32 v169, 0x3e9e377a, v170
	;; [unrolled: 1-line block ×3, first 2 shown]
	v_add_f32_e32 v170, v195, v207
	v_add_f32_e32 v156, v131, v195
	v_fma_f32 v131, -0.5, v170, v131
	v_mov_b32_e32 v171, v131
	v_sub_f32_e32 v170, v199, v195
	v_sub_f32_e32 v176, v203, v207
	v_fmac_f32_e32 v131, 0x3f737871, v168
	v_add_f32_e32 v170, v170, v176
	v_fmac_f32_e32 v131, 0xbf167918, v164
	v_fmac_f32_e32 v171, 0xbf737871, v168
	;; [unrolled: 1-line block ×4, first 2 shown]
	v_mul_f32_e32 v179, 0xbf737871, v131
	v_mul_f32_e32 v131, 0xbe9e377a, v131
	v_fmac_f32_e32 v171, 0x3e9e377a, v170
	v_mul_f32_e32 v176, 0xbf167918, v169
	v_fmac_f32_e32 v179, 0xbe9e377a, v130
	v_fmac_f32_e32 v131, 0x3f737871, v130
	v_mul_f32_e32 v130, 0xbf4f1bbd, v161
	v_fmac_f32_e32 v176, 0x3f4f1bbd, v157
	v_mul_f32_e32 v178, 0xbf737871, v171
	v_mul_f32_e32 v183, 0x3e9e377a, v171
	v_fmac_f32_e32 v130, 0x3f167918, v153
	v_add_f32_e32 v152, v152, v198
	v_add_f32_e32 v186, v174, v176
	v_fmac_f32_e32 v178, 0x3e9e377a, v165
	v_add_f32_e32 v170, v148, v179
	v_mul_f32_e32 v181, 0xbf167918, v161
	v_mul_f32_e32 v157, 0x3f167918, v157
	v_fmac_f32_e32 v183, 0x3f737871, v165
	v_add_f32_e32 v165, v3, v130
	v_sub_f32_e32 v180, v174, v176
	v_sub_f32_e32 v176, v148, v179
	;; [unrolled: 1-line block ×3, first 2 shown]
	v_add_f32_e32 v3, v158, v162
	v_add_f32_e32 v152, v152, v202
	v_fmac_f32_e32 v181, 0xbf4f1bbd, v153
	v_fmac_f32_e32 v157, 0x3f4f1bbd, v169
	v_fma_f32 v3, -0.5, v3, v150
	v_add_f32_e32 v152, v152, v206
	v_add_f32_e32 v168, v175, v178
	;; [unrolled: 1-line block ×5, first 2 shown]
	v_sub_f32_e32 v182, v175, v178
	v_sub_f32_e32 v178, v167, v181
	;; [unrolled: 1-line block ×5, first 2 shown]
	v_mov_b32_e32 v131, v3
	v_add_f32_e32 v184, v166, v152
	v_sub_f32_e32 v166, v166, v152
	v_fmac_f32_e32 v131, 0xbf737871, v130
	v_sub_f32_e32 v148, v159, v163
	v_sub_f32_e32 v149, v154, v158
	;; [unrolled: 1-line block ×3, first 2 shown]
	v_fmac_f32_e32 v3, 0x3f737871, v130
	v_add_f32_e32 v156, v156, v199
	v_fmac_f32_e32 v131, 0xbf167918, v148
	v_add_f32_e32 v149, v149, v152
	;; [unrolled: 2-line block ×3, first 2 shown]
	v_fmac_f32_e32 v131, 0x3e9e377a, v149
	v_fmac_f32_e32 v3, 0x3e9e377a, v149
	v_add_f32_e32 v149, v154, v172
	v_add_f32_e32 v156, v156, v207
	v_fma_f32 v149, -0.5, v149, v150
	v_add_f32_e32 v185, v0, v156
	v_sub_f32_e32 v167, v0, v156
	v_add_f32_e32 v0, v150, v154
	v_mov_b32_e32 v150, v149
	v_fmac_f32_e32 v150, 0x3f737871, v148
	v_fmac_f32_e32 v149, 0xbf737871, v148
	v_add_f32_e32 v148, v159, v163
	v_sub_f32_e32 v152, v158, v154
	v_sub_f32_e32 v153, v162, v172
	v_fma_f32 v194, -0.5, v148, v151
	v_fmac_f32_e32 v150, 0xbf167918, v130
	v_add_f32_e32 v152, v152, v153
	v_fmac_f32_e32 v149, 0x3f167918, v130
	v_sub_f32_e32 v148, v154, v172
	v_mov_b32_e32 v157, v194
	v_fmac_f32_e32 v150, 0x3e9e377a, v152
	v_fmac_f32_e32 v149, 0x3e9e377a, v152
	v_fmac_f32_e32 v157, 0x3f737871, v148
	v_sub_f32_e32 v152, v158, v162
	v_sub_f32_e32 v153, v155, v159
	;; [unrolled: 1-line block ×3, first 2 shown]
	v_fmac_f32_e32 v194, 0xbf737871, v148
	v_fmac_f32_e32 v157, 0x3f167918, v152
	v_add_f32_e32 v153, v153, v154
	v_fmac_f32_e32 v194, 0xbf167918, v152
	v_fmac_f32_e32 v157, 0x3e9e377a, v153
	;; [unrolled: 1-line block ×3, first 2 shown]
	v_add_f32_e32 v153, v155, v173
	v_add_f32_e32 v130, v151, v155
	v_fmac_f32_e32 v151, -0.5, v153
	v_mov_b32_e32 v195, v151
	v_fmac_f32_e32 v195, 0xbf737871, v152
	v_sub_f32_e32 v153, v159, v155
	v_sub_f32_e32 v154, v163, v173
	v_fmac_f32_e32 v151, 0x3f737871, v152
	v_fmac_f32_e32 v195, 0x3f167918, v148
	v_add_f32_e32 v153, v153, v154
	v_fmac_f32_e32 v151, 0xbf167918, v148
	s_waitcnt lgkmcnt(1)
	v_add_f32_e32 v152, v140, v144
	v_fmac_f32_e32 v195, 0x3e9e377a, v153
	v_fmac_f32_e32 v151, 0x3e9e377a, v153
	v_fma_f32 v153, -0.5, v152, v132
	s_waitcnt lgkmcnt(0)
	v_sub_f32_e32 v152, v137, v189
	v_mov_b32_e32 v154, v153
	v_add_f32_e32 v0, v0, v158
	v_fmac_f32_e32 v154, 0xbf737871, v152
	v_sub_f32_e32 v155, v141, v145
	v_sub_f32_e32 v156, v136, v140
	;; [unrolled: 1-line block ×3, first 2 shown]
	v_fmac_f32_e32 v153, 0x3f737871, v152
	v_fmac_f32_e32 v154, 0xbf167918, v155
	v_add_f32_e32 v156, v156, v158
	v_fmac_f32_e32 v153, 0x3f167918, v155
	v_fmac_f32_e32 v154, 0x3e9e377a, v156
	;; [unrolled: 1-line block ×3, first 2 shown]
	v_add_f32_e32 v156, v136, v188
	v_add_f32_e32 v148, v132, v136
	v_fma_f32 v132, -0.5, v156, v132
	v_mov_b32_e32 v156, v132
	v_fmac_f32_e32 v156, 0x3f737871, v155
	v_fmac_f32_e32 v132, 0xbf737871, v155
	;; [unrolled: 1-line block ×4, first 2 shown]
	v_add_f32_e32 v152, v133, v137
	v_add_f32_e32 v152, v152, v141
	;; [unrolled: 1-line block ×3, first 2 shown]
	v_sub_f32_e32 v158, v140, v136
	v_sub_f32_e32 v159, v144, v188
	v_add_f32_e32 v152, v152, v145
	v_add_f32_e32 v158, v158, v159
	;; [unrolled: 1-line block ×4, first 2 shown]
	v_fmac_f32_e32 v156, 0x3e9e377a, v158
	v_fmac_f32_e32 v132, 0x3e9e377a, v158
	v_fma_f32 v158, -0.5, v152, v133
	v_add_f32_e32 v148, v148, v140
	v_sub_f32_e32 v136, v136, v188
	v_mov_b32_e32 v159, v158
	v_add_f32_e32 v148, v148, v144
	v_fmac_f32_e32 v159, 0x3f737871, v136
	v_sub_f32_e32 v140, v140, v144
	v_sub_f32_e32 v144, v137, v141
	;; [unrolled: 1-line block ×3, first 2 shown]
	v_fmac_f32_e32 v158, 0xbf737871, v136
	v_fmac_f32_e32 v159, 0x3f167918, v140
	v_add_f32_e32 v144, v144, v152
	v_fmac_f32_e32 v158, 0xbf167918, v140
	v_fmac_f32_e32 v159, 0x3e9e377a, v144
	;; [unrolled: 1-line block ×3, first 2 shown]
	v_add_f32_e32 v144, v137, v189
	v_fma_f32 v133, -0.5, v144, v133
	v_mov_b32_e32 v144, v133
	v_fmac_f32_e32 v144, 0xbf737871, v140
	v_sub_f32_e32 v137, v141, v137
	v_sub_f32_e32 v141, v145, v189
	v_fmac_f32_e32 v144, 0x3f167918, v136
	v_add_f32_e32 v137, v137, v141
	v_fmac_f32_e32 v133, 0x3f737871, v140
	v_fmac_f32_e32 v144, 0x3e9e377a, v137
	;; [unrolled: 1-line block ×4, first 2 shown]
	v_mul_f32_e32 v137, 0xbf737871, v144
	v_mul_f32_e32 v141, 0xbf167918, v158
	v_fmac_f32_e32 v137, 0x3e9e377a, v156
	v_mul_f32_e32 v140, 0xbf737871, v133
	v_fmac_f32_e32 v141, 0xbf4f1bbd, v153
	v_mul_f32_e32 v133, 0xbe9e377a, v133
	v_add_f32_e32 v169, v160, v183
	v_sub_f32_e32 v183, v160, v183
	v_add_f32_e32 v130, v130, v163
	v_mul_f32_e32 v136, 0xbf167918, v159
	v_add_f32_e32 v160, v150, v137
	v_fmac_f32_e32 v140, 0xbe9e377a, v132
	v_add_f32_e32 v152, v3, v141
	v_fmac_f32_e32 v133, 0x3f737871, v132
	v_mul_f32_e32 v132, 0xbf4f1bbd, v158
	v_sub_f32_e32 v158, v150, v137
	v_sub_f32_e32 v150, v3, v141
	v_add_f32_e32 v3, v196, v200
	v_add_f32_e32 v0, v0, v162
	;; [unrolled: 1-line block ×3, first 2 shown]
	v_fmac_f32_e32 v136, 0x3f4f1bbd, v154
	v_mul_f32_e32 v144, 0x3e9e377a, v144
	v_fma_f32 v3, -0.5, v3, v128
	v_add_f32_e32 v0, v0, v172
	v_add_f32_e32 v148, v148, v188
	;; [unrolled: 1-line block ×4, first 2 shown]
	v_fmac_f32_e32 v144, 0x3f737871, v156
	v_fmac_f32_e32 v132, 0x3f167918, v153
	v_sub_f32_e32 v156, v131, v136
	v_sub_f32_e32 v155, v130, v155
	;; [unrolled: 1-line block ×3, first 2 shown]
	v_mov_b32_e32 v131, v3
	v_add_f32_e32 v172, v0, v148
	v_add_f32_e32 v162, v149, v140
	v_mul_f32_e32 v145, 0x3f167918, v154
	v_add_f32_e32 v163, v151, v133
	v_add_f32_e32 v153, v194, v132
	v_sub_f32_e32 v154, v0, v148
	v_sub_f32_e32 v148, v149, v140
	;; [unrolled: 1-line block ×4, first 2 shown]
	v_fmac_f32_e32 v131, 0xbf737871, v130
	v_sub_f32_e32 v132, v197, v201
	v_sub_f32_e32 v133, v192, v196
	;; [unrolled: 1-line block ×3, first 2 shown]
	v_fmac_f32_e32 v3, 0x3f737871, v130
	v_fmac_f32_e32 v131, 0xbf167918, v132
	v_add_f32_e32 v133, v133, v136
	v_fmac_f32_e32 v3, 0x3f167918, v132
	v_fmac_f32_e32 v131, 0x3e9e377a, v133
	;; [unrolled: 1-line block ×3, first 2 shown]
	v_add_f32_e32 v133, v192, v204
	v_add_f32_e32 v0, v128, v192
	v_fma_f32 v128, -0.5, v133, v128
	v_mov_b32_e32 v137, v128
	v_fmac_f32_e32 v137, 0x3f737871, v132
	v_fmac_f32_e32 v128, 0xbf737871, v132
	;; [unrolled: 1-line block ×4, first 2 shown]
	v_add_f32_e32 v130, v129, v193
	v_add_f32_e32 v130, v130, v197
	;; [unrolled: 1-line block ×5, first 2 shown]
	v_sub_f32_e32 v133, v196, v192
	v_sub_f32_e32 v136, v200, v204
	v_fma_f32 v189, -0.5, v130, v129
	v_add_f32_e32 v133, v133, v136
	v_sub_f32_e32 v130, v192, v204
	v_mov_b32_e32 v192, v189
	v_fmac_f32_e32 v137, 0x3e9e377a, v133
	v_fmac_f32_e32 v128, 0x3e9e377a, v133
	;; [unrolled: 1-line block ×3, first 2 shown]
	v_sub_f32_e32 v132, v196, v200
	v_sub_f32_e32 v133, v193, v197
	;; [unrolled: 1-line block ×3, first 2 shown]
	v_fmac_f32_e32 v189, 0xbf737871, v130
	v_fmac_f32_e32 v192, 0x3f167918, v132
	v_add_f32_e32 v133, v133, v136
	v_fmac_f32_e32 v189, 0xbf167918, v132
	v_fmac_f32_e32 v192, 0x3e9e377a, v133
	;; [unrolled: 1-line block ×3, first 2 shown]
	v_add_f32_e32 v133, v193, v205
	v_fmac_f32_e32 v129, -0.5, v133
	v_mov_b32_e32 v194, v129
	v_fmac_f32_e32 v194, 0xbf737871, v132
	v_sub_f32_e32 v133, v197, v193
	v_sub_f32_e32 v136, v201, v205
	v_fmac_f32_e32 v129, 0x3f737871, v132
	v_fmac_f32_e32 v194, 0x3f167918, v130
	v_add_f32_e32 v133, v133, v136
	v_fmac_f32_e32 v129, 0xbf167918, v130
	v_add_f32_e32 v132, v142, v146
	v_fmac_f32_e32 v194, 0x3e9e377a, v133
	v_fmac_f32_e32 v129, 0x3e9e377a, v133
	v_fma_f32 v133, -0.5, v132, v134
	v_sub_f32_e32 v132, v139, v191
	v_mov_b32_e32 v136, v133
	v_fmac_f32_e32 v145, 0x3f4f1bbd, v159
	v_add_f32_e32 v161, v195, v144
	v_sub_f32_e32 v159, v195, v144
	v_fmac_f32_e32 v136, 0xbf737871, v132
	v_sub_f32_e32 v140, v143, v147
	v_sub_f32_e32 v141, v138, v142
	v_sub_f32_e32 v144, v190, v146
	v_fmac_f32_e32 v133, 0x3f737871, v132
	v_fmac_f32_e32 v136, 0xbf167918, v140
	v_add_f32_e32 v141, v141, v144
	v_fmac_f32_e32 v133, 0x3f167918, v140
	v_fmac_f32_e32 v136, 0x3e9e377a, v141
	;; [unrolled: 1-line block ×3, first 2 shown]
	v_add_f32_e32 v141, v138, v190
	v_add_f32_e32 v130, v134, v138
	v_fma_f32 v134, -0.5, v141, v134
	v_mov_b32_e32 v141, v134
	v_fmac_f32_e32 v141, 0x3f737871, v140
	v_fmac_f32_e32 v134, 0xbf737871, v140
	;; [unrolled: 1-line block ×4, first 2 shown]
	v_add_f32_e32 v132, v135, v139
	v_add_f32_e32 v132, v132, v143
	;; [unrolled: 1-line block ×6, first 2 shown]
	v_sub_f32_e32 v157, v157, v145
	v_sub_f32_e32 v144, v142, v138
	;; [unrolled: 1-line block ×3, first 2 shown]
	v_fma_f32 v195, -0.5, v132, v135
	v_add_f32_e32 v144, v144, v145
	v_sub_f32_e32 v132, v138, v190
	v_mov_b32_e32 v138, v195
	v_add_f32_e32 v130, v130, v142
	v_fmac_f32_e32 v141, 0x3e9e377a, v144
	v_fmac_f32_e32 v134, 0x3e9e377a, v144
	;; [unrolled: 1-line block ×3, first 2 shown]
	v_sub_f32_e32 v140, v142, v146
	v_sub_f32_e32 v142, v139, v143
	;; [unrolled: 1-line block ×3, first 2 shown]
	v_fmac_f32_e32 v195, 0xbf737871, v132
	v_fmac_f32_e32 v138, 0x3f167918, v140
	v_add_f32_e32 v142, v142, v144
	v_fmac_f32_e32 v195, 0xbf167918, v140
	v_fmac_f32_e32 v138, 0x3e9e377a, v142
	;; [unrolled: 1-line block ×3, first 2 shown]
	v_add_f32_e32 v142, v139, v191
	v_add_f32_e32 v130, v130, v146
	v_fmac_f32_e32 v135, -0.5, v142
	v_add_f32_e32 v130, v130, v190
	v_mov_b32_e32 v190, v135
	v_sub_f32_e32 v139, v143, v139
	v_sub_f32_e32 v142, v147, v191
	v_fmac_f32_e32 v135, 0x3f737871, v140
	v_fmac_f32_e32 v190, 0xbf737871, v140
	v_add_f32_e32 v139, v139, v142
	v_fmac_f32_e32 v135, 0xbf167918, v132
	v_add_f32_e32 v0, v0, v196
	v_fmac_f32_e32 v190, 0x3f167918, v132
	v_fmac_f32_e32 v135, 0x3e9e377a, v139
	v_add_f32_e32 v0, v0, v200
	v_fmac_f32_e32 v190, 0x3e9e377a, v139
	v_mul_f32_e32 v139, 0xbf167918, v138
	v_mul_f32_e32 v196, 0xbf737871, v135
	;; [unrolled: 1-line block ×5, first 2 shown]
	v_add_f32_e32 v0, v0, v204
	v_fmac_f32_e32 v139, 0x3f4f1bbd, v136
	v_mul_f32_e32 v191, 0xbf737871, v190
	v_fmac_f32_e32 v196, 0xbe9e377a, v134
	v_fmac_f32_e32 v197, 0xbf4f1bbd, v133
	v_mul_f32_e32 v198, 0x3f167918, v136
	v_mul_f32_e32 v190, 0x3e9e377a, v190
	v_fmac_f32_e32 v199, 0x3f737871, v134
	v_fmac_f32_e32 v195, 0x3f167918, v133
	v_add_f32_e32 v144, v0, v130
	v_add_f32_e32 v146, v131, v139
	v_fmac_f32_e32 v191, 0x3e9e377a, v141
	v_add_f32_e32 v142, v128, v196
	v_fmac_f32_e32 v198, 0x3f4f1bbd, v138
	v_fmac_f32_e32 v190, 0x3f737871, v141
	v_add_f32_e32 v143, v129, v199
	v_sub_f32_e32 v134, v0, v130
	v_sub_f32_e32 v136, v131, v139
	;; [unrolled: 1-line block ×6, first 2 shown]
	v_add_u32_e32 v203, 0x400, v247
	v_add_f32_e32 v140, v137, v191
	v_add_f32_e32 v132, v3, v197
	;; [unrolled: 1-line block ×6, first 2 shown]
	v_sub_f32_e32 v138, v137, v191
	v_sub_f32_e32 v135, v188, v193
	v_sub_f32_e32 v137, v192, v198
	v_sub_f32_e32 v139, v194, v190
	s_barrier
	ds_write_b128 v244, v[184:187]
	ds_write_b128 v244, v[168:171] offset:16
	ds_write_b128 v244, v[164:167] offset:32
	ds_write_b128 v244, v[180:183] offset:48
	ds_write_b128 v244, v[176:179] offset:64
	ds_write_b128 v246, v[172:175]
	ds_write_b128 v246, v[160:163] offset:16
	ds_write_b128 v246, v[152:155] offset:32
	ds_write_b128 v246, v[156:159] offset:48
	ds_write_b128 v246, v[148:151] offset:64
	;; [unrolled: 5-line block ×3, first 2 shown]
	s_waitcnt lgkmcnt(0)
	s_barrier
	ds_read2_b64 v[128:131], v203 offset0:112 offset1:232
	v_add_u32_e32 v205, 0x1400, v247
	ds_read2_b64 v[132:135], v247 offset1:120
	ds_read2_b64 v[142:145], v205 offset0:80 offset1:200
	ds_read2_b64 v[154:157], v245 offset0:64 offset1:184
	v_add_u32_e32 v204, 0x2c00, v247
	ds_read2_b64 v[158:161], v204 offset0:32 offset1:152
	ds_read2_b64 v[162:165], v239 offset0:16 offset1:136
	s_waitcnt lgkmcnt(5)
	v_mul_f32_e32 v0, v85, v130
	v_add_u32_e32 v202, 0x4000, v247
	v_mul_f32_e32 v137, v85, v131
	v_fma_f32 v131, v84, v131, -v0
	s_waitcnt lgkmcnt(3)
	v_mul_f32_e32 v0, v87, v142
	ds_read2_b64 v[166:169], v202 offset0:112 offset1:232
	ds_read2_b64 v[170:173], v241 offset0:96 offset1:216
	;; [unrolled: 1-line block ×3, first 2 shown]
	v_fma_f32 v146, v86, v143, -v0
	s_waitcnt lgkmcnt(5)
	v_mul_f32_e32 v0, v81, v156
	v_fmac_f32_e32 v137, v84, v130
	v_fma_f32 v130, v80, v157, -v0
	s_waitcnt lgkmcnt(4)
	v_mul_f32_e32 v0, v83, v158
	v_fma_f32 v147, v82, v159, -v0
	s_waitcnt lgkmcnt(3)
	v_mul_f32_e32 v0, v77, v164
	v_add_u32_e32 v207, 0x6000, v247
	v_fma_f32 v136, v76, v165, -v0
	s_waitcnt lgkmcnt(2)
	v_mul_f32_e32 v0, v79, v166
	ds_read2_b64 v[178:181], v207 offset0:48 offset1:168
	ds_read2_b64 v[182:185], v242 offset0:96 offset1:216
	;; [unrolled: 1-line block ×4, first 2 shown]
	v_fma_f32 v148, v78, v167, -v0
	s_waitcnt lgkmcnt(5)
	v_mul_f32_e32 v0, v73, v172
	v_fma_f32 v138, v72, v173, -v0
	s_waitcnt lgkmcnt(4)
	v_mul_f32_e32 v0, v75, v174
	;; [unrolled: 3-line block ×3, first 2 shown]
	v_add_u32_e32 v206, 0x5000, v247
	v_fma_f32 v139, v214, v181, -v0
	s_waitcnt lgkmcnt(2)
	v_mul_f32_e32 v0, v125, v182
	ds_read2_b64 v[194:197], v206 offset0:80 offset1:200
	v_mul_f32_e32 v150, v87, v143
	v_mul_f32_e32 v140, v81, v157
	v_fma_f32 v81, v124, v183, -v0
	v_mul_f32_e32 v0, v127, v144
	v_mov_b32_e32 v244, v2
	v_add_u32_e32 v2, 0x6800, v247
	v_fmac_f32_e32 v150, v86, v142
	v_mul_f32_e32 v152, v79, v167
	v_mul_f32_e32 v142, v73, v173
	v_fma_f32 v79, v126, v145, -v0
	s_waitcnt lgkmcnt(2)
	v_mul_f32_e32 v0, v121, v186
	ds_read2_b64 v[198:201], v2 offset0:32 offset1:152
	v_fmac_f32_e32 v142, v72, v172
	v_fma_f32 v72, v120, v187, -v0
	v_mul_f32_e32 v0, v123, v160
	v_fmac_f32_e32 v140, v80, v156
	v_fma_f32 v80, v122, v161, -v0
	s_waitcnt lgkmcnt(2)
	v_mul_f32_e32 v0, v113, v190
	v_fma_f32 v73, v112, v191, -v0
	v_mul_f32_e32 v0, v115, v168
	v_mul_f32_e32 v151, v83, v159
	v_fma_f32 v83, v114, v169, -v0
	s_waitcnt lgkmcnt(1)
	v_mul_f32_e32 v0, v109, v194
	v_mul_f32_e32 v153, v75, v175
	v_fma_f32 v75, v108, v195, -v0
	v_mul_f32_e32 v0, v111, v176
	v_fmac_f32_e32 v151, v82, v158
	v_mul_f32_e32 v82, v127, v145
	v_fma_f32 v85, v110, v177, -v0
	s_waitcnt lgkmcnt(0)
	v_mul_f32_e32 v0, v211, v198
	v_fmac_f32_e32 v82, v126, v144
	v_mul_f32_e32 v87, v111, v177
	v_fma_f32 v144, v210, v199, -v0
	v_mul_f32_e32 v0, v117, v184
	v_fmac_f32_e32 v152, v78, v166
	v_mul_f32_e32 v78, v109, v195
	v_fmac_f32_e32 v87, v110, v176
	v_fma_f32 v110, v116, v185, -v0
	v_mul_f32_e32 v0, v119, v154
	v_mul_f32_e32 v141, v77, v165
	v_fmac_f32_e32 v78, v108, v194
	v_fma_f32 v111, v118, v155, -v0
	v_mul_f32_e32 v108, v105, v189
	v_mul_f32_e32 v0, v105, v188
	v_fmac_f32_e32 v141, v76, v164
	v_mul_f32_e32 v76, v113, v191
	v_fmac_f32_e32 v108, v104, v188
	v_fma_f32 v104, v104, v189, -v0
	v_mul_f32_e32 v113, v107, v163
	v_mul_f32_e32 v0, v107, v162
	v_fmac_f32_e32 v113, v106, v162
	v_fma_f32 v106, v106, v163, -v0
	v_mul_f32_e32 v105, v101, v193
	v_mul_f32_e32 v0, v101, v192
	;; [unrolled: 1-line block ×3, first 2 shown]
	v_fmac_f32_e32 v105, v100, v192
	v_fma_f32 v100, v100, v193, -v0
	v_mul_f32_e32 v0, v103, v170
	v_fmac_f32_e32 v86, v114, v168
	v_mul_f32_e32 v114, v103, v171
	v_fma_f32 v103, v102, v171, -v0
	v_mul_f32_e32 v0, v93, v196
	v_fma_f32 v101, v92, v197, -v0
	v_mul_f32_e32 v0, v95, v178
	v_mul_f32_e32 v109, v117, v185
	v_fma_f32 v107, v94, v179, -v0
	v_mul_f32_e32 v0, v209, v200
	v_fmac_f32_e32 v109, v116, v184
	v_fma_f32 v116, v208, v201, -v0
	v_add_f32_e32 v0, v132, v150
	v_add_f32_e32 v0, v0, v151
	v_fmac_f32_e32 v153, v74, v174
	v_add_f32_e32 v0, v0, v152
	v_fmac_f32_e32 v114, v102, v170
	v_mul_f32_e32 v102, v93, v197
	v_add_f32_e32 v93, v0, v153
	v_add_f32_e32 v0, v151, v152
	v_fmac_f32_e32 v102, v92, v196
	v_mul_f32_e32 v115, v95, v179
	v_fma_f32 v92, -0.5, v0, v132
	v_fmac_f32_e32 v76, v112, v190
	v_mul_f32_e32 v112, v119, v155
	v_fmac_f32_e32 v115, v94, v178
	v_sub_f32_e32 v0, v146, v149
	v_mov_b32_e32 v94, v92
	v_fmac_f32_e32 v112, v118, v154
	v_fmac_f32_e32 v94, 0xbf737871, v0
	v_sub_f32_e32 v3, v147, v148
	v_sub_f32_e32 v95, v150, v151
	;; [unrolled: 1-line block ×3, first 2 shown]
	v_fmac_f32_e32 v92, 0x3f737871, v0
	v_fmac_f32_e32 v94, 0xbf167918, v3
	v_add_f32_e32 v95, v95, v118
	v_fmac_f32_e32 v92, 0x3f167918, v3
	v_fmac_f32_e32 v94, 0x3e9e377a, v95
	;; [unrolled: 1-line block ×3, first 2 shown]
	v_add_f32_e32 v95, v150, v153
	v_fma_f32 v95, -0.5, v95, v132
	v_mul_f32_e32 v74, v121, v187
	v_mov_b32_e32 v118, v95
	v_fmac_f32_e32 v74, v120, v186
	v_fmac_f32_e32 v118, 0x3f737871, v3
	v_sub_f32_e32 v119, v151, v150
	v_sub_f32_e32 v120, v152, v153
	v_fmac_f32_e32 v95, 0xbf737871, v3
	v_add_f32_e32 v3, v147, v148
	v_fmac_f32_e32 v118, 0xbf167918, v0
	v_add_f32_e32 v119, v119, v120
	v_fmac_f32_e32 v95, 0x3f167918, v0
	v_fma_f32 v3, -0.5, v3, v133
	v_mul_f32_e32 v84, v123, v161
	v_fmac_f32_e32 v118, 0x3e9e377a, v119
	v_fmac_f32_e32 v95, 0x3e9e377a, v119
	v_sub_f32_e32 v119, v150, v153
	v_mov_b32_e32 v121, v3
	v_fmac_f32_e32 v84, v122, v160
	v_fmac_f32_e32 v121, 0x3f737871, v119
	v_sub_f32_e32 v120, v151, v152
	v_sub_f32_e32 v122, v146, v147
	;; [unrolled: 1-line block ×3, first 2 shown]
	v_fmac_f32_e32 v3, 0xbf737871, v119
	v_fmac_f32_e32 v121, 0x3f167918, v120
	v_add_f32_e32 v122, v122, v123
	v_fmac_f32_e32 v3, 0xbf167918, v120
	v_fmac_f32_e32 v121, 0x3e9e377a, v122
	;; [unrolled: 1-line block ×3, first 2 shown]
	v_add_f32_e32 v122, v146, v149
	v_fma_f32 v123, -0.5, v122, v133
	v_mul_f32_e32 v77, v125, v183
	v_mov_b32_e32 v127, v123
	v_fmac_f32_e32 v77, v124, v182
	v_fmac_f32_e32 v127, 0xbf737871, v120
	v_sub_f32_e32 v122, v147, v146
	v_sub_f32_e32 v124, v148, v149
	v_fmac_f32_e32 v123, 0x3f737871, v120
	v_add_f32_e32 v120, v141, v142
	v_mul_f32_e32 v143, v215, v181
	v_fmac_f32_e32 v127, 0x3f167918, v119
	v_add_f32_e32 v122, v122, v124
	v_fmac_f32_e32 v123, 0xbf167918, v119
	v_fma_f32 v120, -0.5, v120, v137
	v_fmac_f32_e32 v143, v214, v180
	v_fmac_f32_e32 v127, 0x3e9e377a, v122
	;; [unrolled: 1-line block ×3, first 2 shown]
	v_sub_f32_e32 v122, v130, v139
	v_mov_b32_e32 v124, v120
	v_fmac_f32_e32 v124, 0xbf737871, v122
	v_sub_f32_e32 v125, v136, v138
	v_sub_f32_e32 v126, v140, v141
	;; [unrolled: 1-line block ×3, first 2 shown]
	v_fmac_f32_e32 v120, 0x3f737871, v122
	v_fmac_f32_e32 v124, 0xbf167918, v125
	v_add_f32_e32 v126, v126, v132
	v_fmac_f32_e32 v120, 0x3f167918, v125
	v_fmac_f32_e32 v124, 0x3e9e377a, v126
	;; [unrolled: 1-line block ×3, first 2 shown]
	v_add_f32_e32 v126, v140, v143
	v_add_f32_e32 v119, v137, v140
	v_fmac_f32_e32 v137, -0.5, v126
	v_mov_b32_e32 v126, v137
	v_fmac_f32_e32 v126, 0x3f737871, v125
	v_fmac_f32_e32 v137, 0xbf737871, v125
	;; [unrolled: 1-line block ×4, first 2 shown]
	v_add_f32_e32 v122, v131, v130
	v_add_f32_e32 v122, v122, v136
	;; [unrolled: 1-line block ×4, first 2 shown]
	v_sub_f32_e32 v132, v141, v140
	v_sub_f32_e32 v133, v142, v143
	v_add_f32_e32 v125, v122, v139
	v_add_f32_e32 v122, v136, v138
	;; [unrolled: 1-line block ×3, first 2 shown]
	v_fma_f32 v122, -0.5, v122, v131
	v_add_f32_e32 v119, v119, v141
	v_fmac_f32_e32 v126, 0x3e9e377a, v132
	v_fmac_f32_e32 v137, 0x3e9e377a, v132
	v_sub_f32_e32 v132, v140, v143
	v_mov_b32_e32 v133, v122
	v_add_f32_e32 v119, v119, v142
	v_fmac_f32_e32 v133, 0x3f737871, v132
	v_sub_f32_e32 v140, v141, v142
	v_sub_f32_e32 v141, v130, v136
	v_sub_f32_e32 v142, v139, v138
	v_fmac_f32_e32 v122, 0xbf737871, v132
	v_fmac_f32_e32 v133, 0x3f167918, v140
	v_add_f32_e32 v141, v141, v142
	v_fmac_f32_e32 v122, 0xbf167918, v140
	v_fmac_f32_e32 v133, 0x3e9e377a, v141
	v_fmac_f32_e32 v122, 0x3e9e377a, v141
	v_add_f32_e32 v141, v130, v139
	v_fmac_f32_e32 v131, -0.5, v141
	v_mov_b32_e32 v146, v131
	v_sub_f32_e32 v130, v136, v130
	v_sub_f32_e32 v136, v138, v139
	v_fmac_f32_e32 v131, 0x3f737871, v140
	v_add_f32_e32 v130, v130, v136
	v_fmac_f32_e32 v131, 0xbf167918, v132
	v_add_f32_e32 v0, v0, v147
	;; [unrolled: 2-line block ×3, first 2 shown]
	v_fmac_f32_e32 v146, 0xbf737871, v140
	v_mul_f32_e32 v139, 0xbf167918, v133
	v_mul_f32_e32 v150, 0x3f4f1bbd, v133
	v_mul_f32_e32 v151, 0xbe9e377a, v131
	v_mul_f32_e32 v152, 0xbf4f1bbd, v122
	v_add_f32_e32 v0, v0, v149
	v_fmac_f32_e32 v146, 0x3f167918, v132
	v_fmac_f32_e32 v139, 0x3f4f1bbd, v124
	v_mul_f32_e32 v148, 0xbf737871, v131
	v_fmac_f32_e32 v150, 0x3f167918, v124
	v_fmac_f32_e32 v151, 0x3f737871, v137
	;; [unrolled: 1-line block ×3, first 2 shown]
	v_add_f32_e32 v119, v119, v143
	v_fmac_f32_e32 v146, 0x3e9e377a, v130
	v_add_f32_e32 v142, v94, v139
	v_fmac_f32_e32 v148, 0xbe9e377a, v137
	v_mul_f32_e32 v149, 0xbf167918, v122
	v_add_f32_e32 v141, v0, v125
	v_add_f32_e32 v143, v121, v150
	;; [unrolled: 1-line block ×4, first 2 shown]
	v_sub_f32_e32 v124, v94, v139
	v_sub_f32_e32 v139, v0, v125
	;; [unrolled: 1-line block ×5, first 2 shown]
	v_add_f32_e32 v3, v84, v86
	v_mul_f32_e32 v147, 0xbf737871, v146
	v_fmac_f32_e32 v149, 0xbf4f1bbd, v120
	v_fma_f32 v3, -0.5, v3, v134
	v_add_f32_e32 v140, v93, v119
	v_fmac_f32_e32 v147, 0x3e9e377a, v126
	v_add_f32_e32 v130, v92, v149
	v_mul_f32_e32 v146, 0x3e9e377a, v146
	v_sub_f32_e32 v138, v93, v119
	v_sub_f32_e32 v122, v92, v149
	;; [unrolled: 1-line block ×3, first 2 shown]
	v_mov_b32_e32 v93, v3
	v_add_f32_e32 v132, v118, v147
	v_add_f32_e32 v136, v95, v148
	v_fmac_f32_e32 v146, 0x3f737871, v126
	v_sub_f32_e32 v126, v118, v147
	v_sub_f32_e32 v120, v95, v148
	v_fmac_f32_e32 v93, 0xbf737871, v92
	v_sub_f32_e32 v94, v80, v83
	v_sub_f32_e32 v95, v82, v84
	;; [unrolled: 1-line block ×3, first 2 shown]
	v_fmac_f32_e32 v3, 0x3f737871, v92
	v_fmac_f32_e32 v93, 0xbf167918, v94
	v_add_f32_e32 v95, v95, v118
	v_fmac_f32_e32 v3, 0x3f167918, v94
	v_fmac_f32_e32 v93, 0x3e9e377a, v95
	;; [unrolled: 1-line block ×3, first 2 shown]
	v_add_f32_e32 v95, v82, v87
	v_fma_f32 v95, -0.5, v95, v134
	v_mov_b32_e32 v118, v95
	v_fmac_f32_e32 v118, 0x3f737871, v94
	v_fmac_f32_e32 v95, 0xbf737871, v94
	;; [unrolled: 1-line block ×4, first 2 shown]
	v_add_f32_e32 v92, v135, v79
	v_add_f32_e32 v0, v134, v82
	v_sub_f32_e32 v119, v84, v82
	v_sub_f32_e32 v134, v86, v87
	v_add_f32_e32 v92, v92, v80
	v_add_f32_e32 v119, v119, v134
	;; [unrolled: 1-line block ×4, first 2 shown]
	v_fmac_f32_e32 v118, 0x3e9e377a, v119
	v_fmac_f32_e32 v95, 0x3e9e377a, v119
	v_add_f32_e32 v119, v92, v85
	v_add_f32_e32 v92, v80, v83
	;; [unrolled: 1-line block ×3, first 2 shown]
	v_fma_f32 v134, -0.5, v92, v135
	v_add_f32_e32 v0, v0, v87
	v_sub_f32_e32 v82, v82, v87
	v_mov_b32_e32 v87, v134
	v_fmac_f32_e32 v87, 0x3f737871, v82
	v_sub_f32_e32 v84, v84, v86
	v_sub_f32_e32 v86, v79, v80
	;; [unrolled: 1-line block ×3, first 2 shown]
	v_fmac_f32_e32 v134, 0xbf737871, v82
	v_fmac_f32_e32 v87, 0x3f167918, v84
	v_add_f32_e32 v86, v86, v92
	v_fmac_f32_e32 v134, 0xbf167918, v84
	v_fmac_f32_e32 v87, 0x3e9e377a, v86
	;; [unrolled: 1-line block ×3, first 2 shown]
	v_add_f32_e32 v86, v79, v85
	v_fmac_f32_e32 v135, -0.5, v86
	v_add_f32_e32 v133, v127, v146
	v_sub_f32_e32 v127, v127, v146
	v_mov_b32_e32 v146, v135
	v_fmac_f32_e32 v146, 0xbf737871, v84
	v_sub_f32_e32 v79, v80, v79
	v_sub_f32_e32 v80, v83, v85
	v_fmac_f32_e32 v135, 0x3f737871, v84
	v_fmac_f32_e32 v146, 0x3f167918, v82
	v_add_f32_e32 v79, v79, v80
	v_fmac_f32_e32 v135, 0xbf167918, v82
	v_fmac_f32_e32 v146, 0x3e9e377a, v79
	;; [unrolled: 1-line block ×3, first 2 shown]
	v_add_f32_e32 v79, v77, v74
	v_mul_f32_e32 v145, v211, v199
	v_add_f32_e32 v79, v79, v76
	v_fmac_f32_e32 v145, v210, v198
	v_add_f32_e32 v79, v79, v78
	v_add_f32_e32 v82, v79, v145
	;; [unrolled: 1-line block ×3, first 2 shown]
	v_fma_f32 v83, -0.5, v79, v77
	v_sub_f32_e32 v79, v72, v144
	v_mov_b32_e32 v84, v83
	v_fmac_f32_e32 v84, 0xbf737871, v79
	v_sub_f32_e32 v80, v73, v75
	v_sub_f32_e32 v85, v74, v76
	v_sub_f32_e32 v86, v145, v78
	v_fmac_f32_e32 v83, 0x3f737871, v79
	v_fmac_f32_e32 v84, 0xbf167918, v80
	v_add_f32_e32 v85, v85, v86
	v_fmac_f32_e32 v83, 0x3f167918, v80
	v_fmac_f32_e32 v84, 0x3e9e377a, v85
	;; [unrolled: 1-line block ×3, first 2 shown]
	v_add_f32_e32 v85, v74, v145
	v_fmac_f32_e32 v77, -0.5, v85
	v_mov_b32_e32 v85, v77
	v_fmac_f32_e32 v85, 0x3f737871, v80
	v_fmac_f32_e32 v77, 0xbf737871, v80
	v_fmac_f32_e32 v85, 0xbf167918, v79
	v_fmac_f32_e32 v77, 0x3f167918, v79
	v_add_f32_e32 v79, v81, v72
	v_add_f32_e32 v79, v79, v73
	v_sub_f32_e32 v86, v76, v74
	v_sub_f32_e32 v92, v78, v145
	v_add_f32_e32 v79, v79, v75
	v_add_f32_e32 v86, v86, v92
	;; [unrolled: 1-line block ×4, first 2 shown]
	v_fmac_f32_e32 v85, 0x3e9e377a, v86
	v_fmac_f32_e32 v77, 0x3e9e377a, v86
	v_fma_f32 v86, -0.5, v79, v81
	v_sub_f32_e32 v74, v74, v145
	v_mov_b32_e32 v79, v86
	v_fmac_f32_e32 v79, 0x3f737871, v74
	v_sub_f32_e32 v76, v76, v78
	v_sub_f32_e32 v78, v72, v73
	;; [unrolled: 1-line block ×3, first 2 shown]
	v_fmac_f32_e32 v86, 0xbf737871, v74
	v_fmac_f32_e32 v79, 0x3f167918, v76
	v_add_f32_e32 v78, v78, v80
	v_fmac_f32_e32 v86, 0xbf167918, v76
	v_fmac_f32_e32 v79, 0x3e9e377a, v78
	;; [unrolled: 1-line block ×3, first 2 shown]
	v_add_f32_e32 v78, v72, v144
	v_fmac_f32_e32 v81, -0.5, v78
	v_mov_b32_e32 v92, v81
	v_fmac_f32_e32 v92, 0xbf737871, v76
	v_sub_f32_e32 v72, v73, v72
	v_sub_f32_e32 v73, v75, v144
	v_fmac_f32_e32 v81, 0x3f737871, v76
	v_fmac_f32_e32 v92, 0x3f167918, v74
	v_add_f32_e32 v72, v72, v73
	v_fmac_f32_e32 v81, 0xbf167918, v74
	v_mul_f32_e32 v149, 0xbf167918, v86
	v_fmac_f32_e32 v92, 0x3e9e377a, v72
	v_fmac_f32_e32 v81, 0x3e9e377a, v72
	v_mul_f32_e32 v144, 0xbf167918, v79
	v_fmac_f32_e32 v149, 0xbf4f1bbd, v83
	v_mul_f32_e32 v150, 0x3f4f1bbd, v79
	;; [unrolled: 2-line block ×3, first 2 shown]
	v_mul_f32_e32 v148, 0xbf737871, v81
	v_add_f32_e32 v76, v3, v149
	v_fmac_f32_e32 v150, 0x3f167918, v84
	v_mul_f32_e32 v151, 0x3e9e377a, v92
	v_sub_f32_e32 v84, v3, v149
	v_add_f32_e32 v3, v113, v114
	v_fmac_f32_e32 v145, 0x3e9e377a, v85
	v_fmac_f32_e32 v148, 0xbe9e377a, v77
	v_fmac_f32_e32 v151, 0x3f737871, v85
	v_mul_f32_e32 v85, 0xbe9e377a, v81
	v_mul_f32_e32 v152, 0xbf4f1bbd, v86
	v_fma_f32 v3, -0.5, v3, v128
	v_add_f32_e32 v72, v0, v82
	v_add_f32_e32 v74, v118, v145
	v_add_f32_e32 v80, v95, v148
	v_add_f32_e32 v73, v119, v147
	v_fmac_f32_e32 v85, 0x3f737871, v77
	v_fmac_f32_e32 v152, 0x3f167918, v83
	v_sub_f32_e32 v94, v0, v82
	v_sub_f32_e32 v92, v118, v145
	;; [unrolled: 1-line block ×5, first 2 shown]
	v_mov_b32_e32 v119, v3
	v_add_f32_e32 v78, v93, v144
	v_add_f32_e32 v81, v135, v85
	;; [unrolled: 1-line block ×3, first 2 shown]
	v_sub_f32_e32 v86, v93, v144
	v_sub_f32_e32 v83, v135, v85
	v_sub_f32_e32 v85, v134, v152
	v_fmac_f32_e32 v119, 0xbf737871, v118
	v_sub_f32_e32 v134, v106, v103
	v_sub_f32_e32 v135, v112, v113
	;; [unrolled: 1-line block ×3, first 2 shown]
	v_fmac_f32_e32 v3, 0x3f737871, v118
	v_fmac_f32_e32 v119, 0xbf167918, v134
	v_add_f32_e32 v135, v135, v144
	v_fmac_f32_e32 v3, 0x3f167918, v134
	v_fmac_f32_e32 v119, 0x3e9e377a, v135
	;; [unrolled: 1-line block ×3, first 2 shown]
	v_add_f32_e32 v135, v112, v115
	v_add_f32_e32 v0, v128, v112
	v_fma_f32 v128, -0.5, v135, v128
	v_mov_b32_e32 v135, v128
	v_fmac_f32_e32 v135, 0x3f737871, v134
	v_fmac_f32_e32 v128, 0xbf737871, v134
	;; [unrolled: 1-line block ×4, first 2 shown]
	v_add_f32_e32 v118, v129, v111
	v_add_f32_e32 v118, v118, v106
	v_sub_f32_e32 v144, v113, v112
	v_sub_f32_e32 v145, v114, v115
	v_add_f32_e32 v118, v118, v103
	v_add_f32_e32 v0, v0, v113
	;; [unrolled: 1-line block ×6, first 2 shown]
	v_fmac_f32_e32 v135, 0x3e9e377a, v144
	v_fmac_f32_e32 v128, 0x3e9e377a, v144
	v_fma_f32 v144, -0.5, v118, v129
	v_add_f32_e32 v0, v0, v115
	v_sub_f32_e32 v112, v112, v115
	v_mov_b32_e32 v115, v144
	v_fmac_f32_e32 v115, 0x3f737871, v112
	v_sub_f32_e32 v113, v113, v114
	v_sub_f32_e32 v114, v111, v106
	;; [unrolled: 1-line block ×3, first 2 shown]
	v_fmac_f32_e32 v144, 0xbf737871, v112
	v_fmac_f32_e32 v115, 0x3f167918, v113
	v_add_f32_e32 v114, v114, v118
	v_fmac_f32_e32 v144, 0xbf167918, v113
	v_fmac_f32_e32 v115, 0x3e9e377a, v114
	;; [unrolled: 1-line block ×3, first 2 shown]
	v_add_f32_e32 v114, v111, v107
	v_fmac_f32_e32 v129, -0.5, v114
	v_mov_b32_e32 v145, v129
	v_fmac_f32_e32 v145, 0xbf737871, v113
	v_sub_f32_e32 v106, v106, v111
	v_sub_f32_e32 v103, v103, v107
	v_fmac_f32_e32 v129, 0x3f737871, v113
	v_fmac_f32_e32 v145, 0x3f167918, v112
	v_add_f32_e32 v103, v106, v103
	v_fmac_f32_e32 v129, 0xbf167918, v112
	v_fmac_f32_e32 v145, 0x3e9e377a, v103
	;; [unrolled: 1-line block ×3, first 2 shown]
	v_add_f32_e32 v103, v109, v108
	v_mul_f32_e32 v117, v209, v201
	v_add_f32_e32 v103, v103, v105
	v_fmac_f32_e32 v117, v208, v200
	v_add_f32_e32 v103, v103, v102
	v_add_f32_e32 v111, v103, v117
	;; [unrolled: 1-line block ×3, first 2 shown]
	v_fma_f32 v112, -0.5, v103, v109
	v_sub_f32_e32 v103, v104, v116
	v_mov_b32_e32 v107, v112
	v_fmac_f32_e32 v107, 0xbf737871, v103
	v_sub_f32_e32 v106, v100, v101
	v_sub_f32_e32 v113, v108, v105
	v_sub_f32_e32 v114, v117, v102
	v_fmac_f32_e32 v112, 0x3f737871, v103
	v_fmac_f32_e32 v107, 0xbf167918, v106
	v_add_f32_e32 v113, v113, v114
	v_fmac_f32_e32 v112, 0x3f167918, v106
	v_fmac_f32_e32 v107, 0x3e9e377a, v113
	;; [unrolled: 1-line block ×3, first 2 shown]
	v_add_f32_e32 v113, v108, v117
	v_fmac_f32_e32 v109, -0.5, v113
	v_mov_b32_e32 v113, v109
	v_fmac_f32_e32 v113, 0x3f737871, v106
	v_fmac_f32_e32 v109, 0xbf737871, v106
	;; [unrolled: 1-line block ×4, first 2 shown]
	v_add_f32_e32 v103, v110, v104
	v_add_f32_e32 v103, v103, v100
	v_sub_f32_e32 v114, v105, v108
	v_sub_f32_e32 v118, v102, v117
	v_add_f32_e32 v103, v103, v101
	v_add_f32_e32 v75, v146, v151
	v_sub_f32_e32 v93, v146, v151
	v_add_f32_e32 v114, v114, v118
	v_add_f32_e32 v146, v103, v116
	;; [unrolled: 1-line block ×3, first 2 shown]
	v_fmac_f32_e32 v113, 0x3e9e377a, v114
	v_fmac_f32_e32 v109, 0x3e9e377a, v114
	v_fma_f32 v114, -0.5, v103, v110
	v_sub_f32_e32 v103, v108, v117
	v_mov_b32_e32 v117, v114
	v_fmac_f32_e32 v117, 0x3f737871, v103
	v_sub_f32_e32 v102, v105, v102
	v_sub_f32_e32 v105, v104, v100
	v_sub_f32_e32 v106, v116, v101
	v_fmac_f32_e32 v114, 0xbf737871, v103
	v_fmac_f32_e32 v117, 0x3f167918, v102
	v_add_f32_e32 v105, v105, v106
	v_fmac_f32_e32 v114, 0xbf167918, v102
	v_fmac_f32_e32 v117, 0x3e9e377a, v105
	;; [unrolled: 1-line block ×3, first 2 shown]
	v_add_f32_e32 v105, v104, v116
	v_fmac_f32_e32 v110, -0.5, v105
	v_mov_b32_e32 v105, v110
	v_fmac_f32_e32 v105, 0xbf737871, v102
	v_sub_f32_e32 v100, v100, v104
	v_sub_f32_e32 v101, v101, v116
	v_fmac_f32_e32 v110, 0x3f737871, v102
	v_fmac_f32_e32 v105, 0x3f167918, v103
	v_add_f32_e32 v100, v100, v101
	v_fmac_f32_e32 v110, 0xbf167918, v103
	v_fmac_f32_e32 v105, 0x3e9e377a, v100
	;; [unrolled: 1-line block ×3, first 2 shown]
	v_add_f32_e32 v100, v0, v111
	v_sub_f32_e32 v118, v0, v111
	s_barrier
	buffer_load_dword v0, off, s[24:27], 0 offset:204 ; 4-byte Folded Reload
	s_waitcnt vmcnt(0)
	ds_write2_b64 v0, v[140:141], v[142:143] offset1:10
	ds_write2_b64 v0, v[132:133], v[136:137] offset0:20 offset1:30
	ds_write2_b64 v0, v[130:131], v[138:139] offset0:40 offset1:50
	;; [unrolled: 1-line block ×4, first 2 shown]
	buffer_load_dword v0, off, s[24:27], 0 offset:196 ; 4-byte Folded Reload
	v_add_f32_e32 v79, v87, v150
	v_sub_f32_e32 v87, v87, v150
	s_waitcnt vmcnt(0)
	ds_write2_b64 v0, v[72:73], v[78:79] offset1:10
	ds_write2_b64 v0, v[74:75], v[80:81] offset0:20 offset1:30
	ds_write2_b64 v0, v[76:77], v[94:95] offset0:40 offset1:50
	;; [unrolled: 1-line block ×4, first 2 shown]
	buffer_load_dword v0, off, s[24:27], 0 offset:200 ; 4-byte Folded Reload
	v_mul_f32_e32 v116, 0xbf167918, v117
	v_mul_f32_e32 v147, 0xbf737871, v105
	;; [unrolled: 1-line block ×6, first 2 shown]
	v_fmac_f32_e32 v116, 0x3f4f1bbd, v107
	v_fmac_f32_e32 v147, 0x3e9e377a, v113
	v_mul_f32_e32 v148, 0xbf737871, v110
	v_fmac_f32_e32 v149, 0xbf4f1bbd, v112
	v_fmac_f32_e32 v117, 0x3f167918, v107
	;; [unrolled: 1-line block ×3, first 2 shown]
	v_mul_f32_e32 v113, 0xbe9e377a, v110
	v_fmac_f32_e32 v151, 0x3f167918, v112
	v_add_f32_e32 v106, v119, v116
	v_add_f32_e32 v102, v135, v147
	v_fmac_f32_e32 v148, 0xbe9e377a, v109
	v_add_f32_e32 v104, v3, v149
	v_add_f32_e32 v101, v134, v146
	;; [unrolled: 1-line block ×4, first 2 shown]
	v_fmac_f32_e32 v113, 0x3f737871, v109
	v_add_f32_e32 v105, v144, v151
	v_add_f32_e32 v108, v128, v148
	;; [unrolled: 1-line block ×3, first 2 shown]
	v_sub_f32_e32 v114, v119, v116
	v_sub_f32_e32 v116, v135, v147
	;; [unrolled: 1-line block ×9, first 2 shown]
	s_waitcnt vmcnt(0)
	ds_write2_b64 v0, v[100:101], v[106:107] offset1:10
	ds_write2_b64 v0, v[102:103], v[108:109] offset0:20 offset1:30
	ds_write2_b64 v0, v[104:105], v[118:119] offset0:40 offset1:50
	;; [unrolled: 1-line block ×4, first 2 shown]
	s_waitcnt lgkmcnt(0)
	s_barrier
	ds_read2_b64 v[76:79], v247 offset1:120
	ds_read2_b64 v[72:75], v242 offset0:96 offset1:216
	ds_read2_b64 v[80:83], v240 offset0:48 offset1:168
	;; [unrolled: 1-line block ×13, first 2 shown]
	v_mov_b32_e32 v149, v2
	ds_read2_b64 v[136:139], v2 offset0:32 offset1:152
	s_waitcnt lgkmcnt(9)
	v_mul_f32_e32 v2, v237, v102
	v_mov_b32_e32 v148, v1
	v_mul_f32_e32 v0, v5, v74
	v_mul_f32_e32 v3, v7, v80
	v_fma_f32 v1, v236, v103, -v2
	s_waitcnt lgkmcnt(8)
	v_mul_f32_e32 v2, v13, v104
	v_mul_f32_e32 v140, v5, v75
	v_fma_f32 v5, v4, v75, -v0
	v_mul_f32_e32 v0, v7, v81
	v_fma_f32 v3, v6, v81, -v3
	v_fma_f32 v81, v12, v105, -v2
	v_mul_f32_e32 v2, v15, v82
	v_fmac_f32_e32 v0, v6, v80
	v_mul_f32_e32 v80, v13, v105
	v_fma_f32 v13, v14, v83, -v2
	s_waitcnt lgkmcnt(7)
	v_mul_f32_e32 v2, v9, v108
	v_fmac_f32_e32 v80, v12, v104
	v_mul_f32_e32 v12, v15, v83
	v_fma_f32 v15, v8, v109, -v2
	v_mul_f32_e32 v2, v11, v94
	v_mul_f32_e32 v6, v231, v86
	v_fma_f32 v83, v10, v95, -v2
	s_waitcnt lgkmcnt(6)
	v_mul_f32_e32 v2, v235, v112
	v_fmac_f32_e32 v140, v4, v74
	v_mul_f32_e32 v4, v231, v87
	v_fma_f32 v6, v230, v87, -v6
	v_mul_f32_e32 v74, v233, v92
	v_fma_f32 v87, v234, v113, -v2
	v_mul_f32_e32 v2, v21, v106
	v_mul_f32_e32 v7, v233, v93
	v_fma_f32 v74, v232, v93, -v74
	v_fma_f32 v93, v20, v107, -v2
	s_waitcnt lgkmcnt(4)
	v_mul_f32_e32 v2, v23, v120
	v_fmac_f32_e32 v12, v14, v82
	v_mul_f32_e32 v82, v11, v95
	v_fma_f32 v95, v22, v121, -v2
	v_mul_f32_e32 v2, v17, v110
	v_mul_f32_e32 v75, v237, v103
	v_fma_f32 v103, v16, v111, -v2
	s_waitcnt lgkmcnt(3)
	v_mul_f32_e32 v2, v19, v124
	v_fma_f32 v105, v18, v125, -v2
	v_mul_f32_e32 v2, v229, v114
	v_fmac_f32_e32 v7, v232, v92
	v_mul_f32_e32 v92, v21, v107
	v_fma_f32 v107, v228, v115, -v2
	s_waitcnt lgkmcnt(2)
	v_mul_f32_e32 v2, v29, v128
	v_mul_f32_e32 v14, v9, v109
	v_fma_f32 v109, v28, v129, -v2
	v_mul_f32_e32 v2, v31, v122
	v_fmac_f32_e32 v75, v236, v102
	v_mul_f32_e32 v102, v17, v111
	v_fma_f32 v111, v30, v123, -v2
	s_waitcnt lgkmcnt(1)
	v_mul_f32_e32 v2, v25, v132
	v_fmac_f32_e32 v4, v230, v86
	v_mul_f32_e32 v86, v235, v113
	v_fma_f32 v113, v24, v133, -v2
	v_mul_f32_e32 v2, v27, v126
	v_fmac_f32_e32 v92, v20, v106
	v_mul_f32_e32 v106, v229, v115
	v_fma_f32 v115, v26, v127, -v2
	s_waitcnt lgkmcnt(0)
	v_mul_f32_e32 v2, v227, v136
	v_fmac_f32_e32 v82, v10, v94
	v_mul_f32_e32 v94, v23, v121
	v_mul_f32_e32 v104, v19, v125
	v_fma_f32 v121, v226, v137, -v2
	v_mul_f32_e32 v2, v37, v130
	v_fmac_f32_e32 v102, v16, v110
	v_fmac_f32_e32 v104, v18, v124
	v_mul_f32_e32 v110, v31, v123
	v_fma_f32 v123, v36, v131, -v2
	v_mul_f32_e32 v124, v39, v85
	v_mul_f32_e32 v2, v39, v84
	v_fmac_f32_e32 v106, v228, v114
	v_mul_f32_e32 v114, v27, v127
	v_fmac_f32_e32 v124, v38, v84
	v_fma_f32 v84, v38, v85, -v2
	v_mul_f32_e32 v2, v33, v134
	v_fmac_f32_e32 v114, v26, v126
	v_fma_f32 v125, v32, v135, -v2
	v_mul_f32_e32 v126, v35, v101
	v_mul_f32_e32 v2, v35, v100
	v_fmac_f32_e32 v126, v34, v100
	v_fma_f32 v100, v34, v101, -v2
	v_mul_f32_e32 v2, v225, v138
	v_fma_f32 v127, v224, v139, -v2
	v_add_f32_e32 v2, v76, v0
	v_fmac_f32_e32 v14, v8, v108
	v_add_f32_e32 v8, v2, v7
	v_add_f32_e32 v2, v0, v7
	v_fma_f32 v9, -0.5, v2, v76
	v_sub_f32_e32 v2, v3, v74
	v_mov_b32_e32 v10, v9
	v_fmac_f32_e32 v10, 0xbf5db3d7, v2
	v_fmac_f32_e32 v9, 0x3f5db3d7, v2
	v_add_f32_e32 v2, v77, v3
	v_add_f32_e32 v11, v2, v74
	;; [unrolled: 1-line block ×3, first 2 shown]
	v_fma_f32 v16, -0.5, v2, v77
	v_sub_f32_e32 v0, v0, v7
	v_mov_b32_e32 v17, v16
	v_fmac_f32_e32 v17, 0x3f5db3d7, v0
	v_fmac_f32_e32 v16, 0xbf5db3d7, v0
	v_add_f32_e32 v0, v140, v4
	v_add_f32_e32 v7, v0, v75
	;; [unrolled: 1-line block ×3, first 2 shown]
	v_fmac_f32_e32 v140, -0.5, v0
	v_sub_f32_e32 v0, v6, v1
	v_mov_b32_e32 v3, v140
	v_fmac_f32_e32 v3, 0xbf5db3d7, v0
	v_fmac_f32_e32 v140, 0x3f5db3d7, v0
	v_add_f32_e32 v0, v5, v6
	v_add_f32_e32 v18, v0, v1
	;; [unrolled: 1-line block ×3, first 2 shown]
	v_fmac_f32_e32 v5, -0.5, v0
	v_sub_f32_e32 v0, v4, v75
	v_mov_b32_e32 v6, v5
	v_fmac_f32_e32 v5, 0xbf5db3d7, v0
	v_fmac_f32_e32 v94, v22, v120
	v_mul_f32_e32 v22, -0.5, v5
	v_fmac_f32_e32 v6, 0x3f5db3d7, v0
	v_fmac_f32_e32 v22, 0x3f5db3d7, v140
	v_add_f32_e32 v0, v8, v7
	v_mul_f32_e32 v19, 0xbf5db3d7, v6
	v_mul_f32_e32 v20, 0xbf5db3d7, v5
	v_add_f32_e32 v1, v11, v18
	v_mul_f32_e32 v21, 0.5, v6
	v_add_f32_e32 v5, v16, v22
	v_sub_f32_e32 v6, v8, v7
	v_sub_f32_e32 v7, v11, v18
	;; [unrolled: 1-line block ×3, first 2 shown]
	v_add_f32_e32 v16, v78, v12
	v_fmac_f32_e32 v19, 0.5, v3
	v_add_f32_e32 v18, v16, v82
	v_add_f32_e32 v16, v12, v82
	;; [unrolled: 1-line block ×3, first 2 shown]
	v_fmac_f32_e32 v20, -0.5, v140
	v_sub_f32_e32 v8, v10, v19
	v_fma_f32 v19, -0.5, v16, v78
	v_add_f32_e32 v4, v9, v20
	v_sub_f32_e32 v10, v9, v20
	v_sub_f32_e32 v16, v13, v83
	v_mov_b32_e32 v20, v19
	v_fmac_f32_e32 v20, 0xbf5db3d7, v16
	v_fmac_f32_e32 v19, 0x3f5db3d7, v16
	v_add_f32_e32 v16, v79, v13
	v_add_f32_e32 v13, v13, v83
	v_fmac_f32_e32 v79, -0.5, v13
	v_sub_f32_e32 v12, v12, v82
	v_mov_b32_e32 v23, v79
	v_fmac_f32_e32 v86, v234, v112
	v_fmac_f32_e32 v23, 0x3f5db3d7, v12
	;; [unrolled: 1-line block ×3, first 2 shown]
	v_add_f32_e32 v12, v80, v14
	v_add_f32_e32 v22, v12, v86
	;; [unrolled: 1-line block ×3, first 2 shown]
	v_fmac_f32_e32 v21, 0x3f5db3d7, v3
	v_fmac_f32_e32 v80, -0.5, v12
	v_add_f32_e32 v3, v17, v21
	v_sub_f32_e32 v9, v17, v21
	v_sub_f32_e32 v12, v15, v87
	v_mov_b32_e32 v17, v80
	v_mul_f32_e32 v112, v25, v133
	v_fmac_f32_e32 v17, 0xbf5db3d7, v12
	v_fmac_f32_e32 v80, 0x3f5db3d7, v12
	v_add_f32_e32 v12, v81, v15
	v_fmac_f32_e32 v112, v24, v132
	v_add_f32_e32 v24, v12, v87
	v_add_f32_e32 v12, v15, v87
	v_fmac_f32_e32 v81, -0.5, v12
	v_sub_f32_e32 v12, v14, v86
	v_mov_b32_e32 v15, v81
	v_fmac_f32_e32 v81, 0xbf5db3d7, v12
	v_mul_f32_e32 v26, 0xbf5db3d7, v81
	v_add_f32_e32 v21, v16, v83
	v_fmac_f32_e32 v26, -0.5, v80
	v_fmac_f32_e32 v15, 0x3f5db3d7, v12
	v_add_f32_e32 v12, v18, v22
	v_add_f32_e32 v16, v19, v26
	;; [unrolled: 1-line block ×3, first 2 shown]
	v_sub_f32_e32 v18, v18, v22
	v_sub_f32_e32 v22, v19, v26
	;; [unrolled: 1-line block ×3, first 2 shown]
	v_add_f32_e32 v24, v116, v94
	v_fmac_f32_e32 v110, v30, v122
	v_add_f32_e32 v30, v24, v104
	v_add_f32_e32 v24, v94, v104
	v_mul_f32_e32 v85, v33, v135
	v_fma_f32 v31, -0.5, v24, v116
	v_fmac_f32_e32 v85, v32, v134
	v_sub_f32_e32 v24, v95, v105
	v_mov_b32_e32 v32, v31
	v_fmac_f32_e32 v32, 0xbf5db3d7, v24
	v_fmac_f32_e32 v31, 0x3f5db3d7, v24
	v_add_f32_e32 v24, v117, v95
	v_add_f32_e32 v33, v24, v105
	;; [unrolled: 1-line block ×3, first 2 shown]
	v_mul_f32_e32 v122, v37, v131
	v_fma_f32 v35, -0.5, v24, v117
	v_fmac_f32_e32 v122, v36, v130
	v_sub_f32_e32 v24, v94, v104
	v_mov_b32_e32 v36, v35
	v_fmac_f32_e32 v36, 0x3f5db3d7, v24
	v_fmac_f32_e32 v35, 0xbf5db3d7, v24
	v_add_f32_e32 v24, v92, v102
	v_mul_f32_e32 v27, 0.5, v15
	v_add_f32_e32 v34, v24, v106
	v_add_f32_e32 v24, v102, v106
	v_fmac_f32_e32 v27, 0x3f5db3d7, v17
	v_fmac_f32_e32 v92, -0.5, v24
	v_mul_f32_e32 v25, 0xbf5db3d7, v15
	v_add_f32_e32 v15, v23, v27
	v_sub_f32_e32 v21, v23, v27
	v_sub_f32_e32 v24, v103, v107
	v_mov_b32_e32 v27, v92
	v_fmac_f32_e32 v27, 0xbf5db3d7, v24
	v_fmac_f32_e32 v92, 0x3f5db3d7, v24
	v_add_f32_e32 v24, v93, v103
	v_add_f32_e32 v37, v24, v107
	;; [unrolled: 1-line block ×3, first 2 shown]
	v_fmac_f32_e32 v93, -0.5, v24
	v_mul_f32_e32 v108, v29, v129
	v_sub_f32_e32 v24, v102, v106
	v_mov_b32_e32 v29, v93
	v_fmac_f32_e32 v29, 0x3f5db3d7, v24
	v_fmac_f32_e32 v93, 0xbf5db3d7, v24
	;; [unrolled: 1-line block ×3, first 2 shown]
	v_mul_f32_e32 v28, -0.5, v81
	v_mul_f32_e32 v39, 0xbf5db3d7, v93
	v_mul_f32_e32 v74, 0.5, v29
	v_fmac_f32_e32 v25, 0.5, v17
	v_fmac_f32_e32 v28, 0x3f5db3d7, v80
	v_mul_f32_e32 v38, 0xbf5db3d7, v29
	v_fmac_f32_e32 v39, -0.5, v92
	v_fmac_f32_e32 v74, 0x3f5db3d7, v27
	v_add_f32_e32 v14, v20, v25
	v_add_f32_e32 v17, v79, v28
	v_sub_f32_e32 v20, v20, v25
	v_sub_f32_e32 v23, v79, v28
	v_add_f32_e32 v24, v30, v34
	v_fmac_f32_e32 v38, 0.5, v27
	v_add_f32_e32 v28, v31, v39
	v_add_f32_e32 v25, v33, v37
	;; [unrolled: 1-line block ×3, first 2 shown]
	v_sub_f32_e32 v30, v30, v34
	v_sub_f32_e32 v34, v31, v39
	;; [unrolled: 1-line block ×4, first 2 shown]
	v_add_f32_e32 v36, v118, v110
	v_add_f32_e32 v76, v36, v114
	;; [unrolled: 1-line block ×3, first 2 shown]
	v_fma_f32 v77, -0.5, v36, v118
	v_sub_f32_e32 v36, v111, v115
	v_mov_b32_e32 v78, v77
	v_fmac_f32_e32 v78, 0xbf5db3d7, v36
	v_fmac_f32_e32 v77, 0x3f5db3d7, v36
	v_add_f32_e32 v36, v119, v111
	v_add_f32_e32 v79, v36, v115
	v_add_f32_e32 v36, v111, v115
	v_fmac_f32_e32 v119, -0.5, v36
	v_mul_f32_e32 v120, v227, v137
	v_sub_f32_e32 v36, v110, v114
	v_mov_b32_e32 v81, v119
	v_fmac_f32_e32 v120, v226, v136
	v_fmac_f32_e32 v81, 0x3f5db3d7, v36
	;; [unrolled: 1-line block ×3, first 2 shown]
	v_add_f32_e32 v36, v108, v112
	v_add_f32_e32 v80, v36, v120
	;; [unrolled: 1-line block ×3, first 2 shown]
	v_fmac_f32_e32 v108, -0.5, v36
	v_sub_f32_e32 v36, v113, v121
	v_mov_b32_e32 v39, v108
	v_fmac_f32_e32 v39, 0xbf5db3d7, v36
	v_fmac_f32_e32 v108, 0x3f5db3d7, v36
	v_add_f32_e32 v36, v109, v113
	v_mul_f32_e32 v75, -0.5, v93
	v_add_f32_e32 v82, v36, v121
	v_add_f32_e32 v36, v113, v121
	v_fmac_f32_e32 v75, 0x3f5db3d7, v92
	v_fmac_f32_e32 v109, -0.5, v36
	v_sub_f32_e32 v36, v112, v120
	v_add_f32_e32 v29, v35, v75
	v_sub_f32_e32 v35, v35, v75
	v_mov_b32_e32 v75, v109
	v_fmac_f32_e32 v109, 0xbf5db3d7, v36
	v_fmac_f32_e32 v75, 0x3f5db3d7, v36
	v_mul_f32_e32 v86, 0xbf5db3d7, v109
	v_fmac_f32_e32 v86, -0.5, v108
	v_mul_f32_e32 v87, 0.5, v75
	v_mul_f32_e32 v92, -0.5, v109
	v_add_f32_e32 v36, v76, v80
	v_mul_f32_e32 v83, 0xbf5db3d7, v75
	v_add_f32_e32 v74, v77, v86
	v_add_f32_e32 v37, v79, v82
	v_fmac_f32_e32 v87, 0x3f5db3d7, v39
	v_fmac_f32_e32 v92, 0x3f5db3d7, v108
	v_sub_f32_e32 v76, v76, v80
	v_sub_f32_e32 v80, v77, v86
	;; [unrolled: 1-line block ×3, first 2 shown]
	v_add_f32_e32 v82, v72, v124
	v_fmac_f32_e32 v83, 0.5, v39
	v_add_f32_e32 v39, v81, v87
	v_add_f32_e32 v75, v119, v92
	v_sub_f32_e32 v79, v81, v87
	v_sub_f32_e32 v81, v119, v92
	v_add_f32_e32 v92, v82, v126
	v_add_f32_e32 v82, v124, v126
	v_fma_f32 v72, -0.5, v82, v72
	v_sub_f32_e32 v82, v84, v100
	v_mov_b32_e32 v93, v72
	v_fmac_f32_e32 v93, 0xbf5db3d7, v82
	v_fmac_f32_e32 v72, 0x3f5db3d7, v82
	v_add_f32_e32 v82, v73, v84
	v_add_f32_e32 v95, v82, v100
	;; [unrolled: 1-line block ×3, first 2 shown]
	v_fmac_f32_e32 v73, -0.5, v82
	v_mul_f32_e32 v101, v225, v139
	v_sub_f32_e32 v82, v124, v126
	v_mov_b32_e32 v100, v73
	v_fmac_f32_e32 v101, v224, v138
	v_fmac_f32_e32 v100, 0x3f5db3d7, v82
	v_fmac_f32_e32 v73, 0xbf5db3d7, v82
	v_add_f32_e32 v82, v122, v85
	v_add_f32_e32 v94, v82, v101
	;; [unrolled: 1-line block ×3, first 2 shown]
	v_fmac_f32_e32 v122, -0.5, v82
	v_sub_f32_e32 v82, v125, v127
	v_mov_b32_e32 v87, v122
	v_fmac_f32_e32 v87, 0xbf5db3d7, v82
	v_fmac_f32_e32 v122, 0x3f5db3d7, v82
	v_add_f32_e32 v82, v123, v125
	v_add_f32_e32 v102, v82, v127
	;; [unrolled: 1-line block ×3, first 2 shown]
	v_fmac_f32_e32 v123, -0.5, v82
	v_sub_f32_e32 v82, v85, v101
	v_mov_b32_e32 v85, v123
	v_fmac_f32_e32 v85, 0x3f5db3d7, v82
	v_mul_f32_e32 v101, 0xbf5db3d7, v85
	v_mul_f32_e32 v104, 0.5, v85
	v_fmac_f32_e32 v101, 0.5, v87
	v_fmac_f32_e32 v104, 0x3f5db3d7, v87
	v_add_f32_e32 v26, v32, v38
	v_sub_f32_e32 v32, v32, v38
	v_add_f32_e32 v38, v78, v83
	v_sub_f32_e32 v78, v78, v83
	v_fmac_f32_e32 v123, 0xbf5db3d7, v82
	v_add_f32_e32 v82, v92, v94
	v_add_f32_e32 v84, v93, v101
	;; [unrolled: 1-line block ×4, first 2 shown]
	v_sub_f32_e32 v92, v92, v94
	v_sub_f32_e32 v94, v93, v101
	v_sub_f32_e32 v93, v95, v102
	v_sub_f32_e32 v95, v100, v104
	s_barrier
	buffer_load_dword v100, off, s[24:27], 0 offset:216 ; 4-byte Folded Reload
	v_mul_f32_e32 v103, 0xbf5db3d7, v123
	v_mul_f32_e32 v105, -0.5, v123
	v_fmac_f32_e32 v103, -0.5, v122
	v_fmac_f32_e32 v105, 0x3f5db3d7, v122
	v_add_f32_e32 v86, v72, v103
	v_add_f32_e32 v87, v73, v105
	v_sub_f32_e32 v72, v72, v103
	v_sub_f32_e32 v73, v73, v105
	s_waitcnt vmcnt(0)
	ds_write2_b64 v100, v[0:1], v[2:3] offset1:100
	buffer_load_dword v0, off, s[24:27], 0 offset:208 ; 4-byte Folded Reload
	s_waitcnt vmcnt(0)
	ds_write2_b64 v0, v[4:5], v[6:7] offset0:72 offset1:172
	buffer_load_dword v0, off, s[24:27], 0 offset:212 ; 4-byte Folded Reload
	s_waitcnt vmcnt(0)
	ds_write2_b64 v0, v[8:9], v[10:11] offset0:144 offset1:244
	buffer_load_dword v0, off, s[24:27], 0 offset:228 ; 4-byte Folded Reload
	s_waitcnt vmcnt(0)
	ds_write2_b64 v0, v[12:13], v[14:15] offset1:100
	buffer_load_dword v0, off, s[24:27], 0 offset:220 ; 4-byte Folded Reload
	s_waitcnt vmcnt(0)
	ds_write2_b64 v0, v[16:17], v[18:19] offset0:72 offset1:172
	buffer_load_dword v0, off, s[24:27], 0 offset:224 ; 4-byte Folded Reload
	s_waitcnt vmcnt(0)
	ds_write2_b64 v0, v[20:21], v[22:23] offset0:144 offset1:244
	buffer_load_dword v0, off, s[24:27], 0 offset:256 ; 4-byte Folded Reload
	;; [unrolled: 9-line block ×4, first 2 shown]
	s_waitcnt vmcnt(0)
	ds_write2_b64 v0, v[82:83], v[84:85] offset1:100
	buffer_load_dword v0, off, s[24:27], 0 offset:248 ; 4-byte Folded Reload
	s_waitcnt vmcnt(0)
	ds_write2_b64 v0, v[86:87], v[92:93] offset0:72 offset1:172
	buffer_load_dword v0, off, s[24:27], 0 offset:252 ; 4-byte Folded Reload
	s_waitcnt vmcnt(0)
	ds_write2_b64 v0, v[94:95], v[72:73] offset0:144 offset1:244
	s_waitcnt lgkmcnt(0)
	s_barrier
	ds_read2_b64 v[0:3], v247 offset1:120
	ds_read2_b64 v[4:7], v242 offset0:96 offset1:216
	ds_read2_b64 v[8:11], v240 offset0:48 offset1:168
	;; [unrolled: 1-line block ×14, first 2 shown]
	s_waitcnt lgkmcnt(13)
	v_mul_f32_e32 v100, v45, v7
	v_fmac_f32_e32 v100, v44, v6
	v_mul_f32_e32 v6, v45, v6
	v_fma_f32 v44, v44, v7, -v6
	s_waitcnt lgkmcnt(12)
	v_mul_f32_e32 v6, v47, v9
	v_fmac_f32_e32 v6, v46, v8
	v_mul_f32_e32 v7, v47, v8
	s_waitcnt lgkmcnt(11)
	v_mul_f32_e32 v8, v41, v15
	v_fma_f32 v7, v46, v9, -v7
	v_fmac_f32_e32 v8, v40, v14
	v_mul_f32_e32 v9, v41, v14
	s_waitcnt lgkmcnt(10)
	v_mul_f32_e32 v14, v43, v17
	v_fma_f32 v9, v40, v15, -v9
	;; [unrolled: 5-line block ×4, first 2 shown]
	v_fmac_f32_e32 v22, v48, v24
	v_mul_f32_e32 v23, v49, v24
	v_mul_f32_e32 v24, v51, v11
	v_fmac_f32_e32 v24, v50, v10
	v_mul_f32_e32 v10, v51, v10
	v_fma_f32 v23, v48, v25, -v23
	v_fma_f32 v25, v50, v11, -v10
	s_waitcnt lgkmcnt(7)
	v_mul_f32_e32 v40, v53, v29
	v_mul_f32_e32 v10, v53, v28
	v_fmac_f32_e32 v40, v52, v28
	v_fma_f32 v28, v52, v29, -v10
	v_mul_f32_e32 v29, v55, v19
	v_mul_f32_e32 v10, v55, v18
	v_fmac_f32_e32 v29, v54, v18
	v_fma_f32 v18, v54, v19, -v10
	s_waitcnt lgkmcnt(6)
	v_mul_f32_e32 v19, v221, v33
	v_mul_f32_e32 v10, v221, v32
	v_fmac_f32_e32 v19, v220, v32
	v_fma_f32 v32, v220, v33, -v10
	v_mul_f32_e32 v10, v61, v26
	v_fma_f32 v41, v60, v27, -v10
	s_waitcnt lgkmcnt(4)
	v_mul_f32_e32 v10, v63, v72
	v_mul_f32_e32 v33, v61, v27
	v_fma_f32 v27, v62, v73, -v10
	v_mul_f32_e32 v42, v57, v31
	v_mul_f32_e32 v10, v57, v30
	v_fmac_f32_e32 v42, v56, v30
	v_fma_f32 v30, v56, v31, -v10
	s_waitcnt lgkmcnt(3)
	v_mul_f32_e32 v10, v59, v76
	v_fma_f32 v43, v58, v77, -v10
	v_mul_f32_e32 v45, v219, v35
	v_mul_f32_e32 v10, v219, v34
	v_fmac_f32_e32 v45, v218, v34
	v_fma_f32 v34, v218, v35, -v10
	s_waitcnt lgkmcnt(2)
	v_mul_f32_e32 v10, v69, v80
	v_fma_f32 v47, v68, v81, -v10
	v_mul_f32_e32 v10, v71, v74
	v_fma_f32 v49, v70, v75, -v10
	s_waitcnt lgkmcnt(1)
	v_mul_f32_e32 v10, v65, v84
	v_fma_f32 v51, v64, v85, -v10
	v_mul_f32_e32 v10, v67, v78
	;; [unrolled: 5-line block ×3, first 2 shown]
	v_fma_f32 v57, v96, v83, -v10
	v_mul_f32_e32 v10, v99, v12
	v_mul_f32_e32 v31, v59, v77
	v_fma_f32 v59, v98, v13, -v10
	v_mul_f32_e32 v10, v89, v86
	v_fma_f32 v61, v88, v87, -v10
	v_mul_f32_e32 v10, v91, v20
	v_add_f32_e32 v11, v6, v14
	v_fmac_f32_e32 v33, v60, v26
	v_mul_f32_e32 v26, v63, v73
	v_fmac_f32_e32 v31, v58, v76
	v_mul_f32_e32 v58, v99, v13
	v_fma_f32 v63, v90, v21, -v10
	v_mul_f32_e32 v10, v213, v94
	v_fma_f32 v11, -0.5, v11, v0
	v_mul_f32_e32 v50, v65, v85
	v_fmac_f32_e32 v58, v98, v12
	v_fma_f32 v65, v212, v95, -v10
	v_add_f32_e32 v10, v0, v6
	v_sub_f32_e32 v0, v7, v15
	v_mov_b32_e32 v12, v11
	v_fmac_f32_e32 v12, 0xbf5db3d7, v0
	v_fmac_f32_e32 v11, 0x3f5db3d7, v0
	v_add_f32_e32 v0, v1, v7
	v_add_f32_e32 v13, v0, v15
	;; [unrolled: 1-line block ×3, first 2 shown]
	v_fmac_f32_e32 v26, v62, v72
	v_mul_f32_e32 v62, v91, v21
	v_fma_f32 v15, -0.5, v0, v1
	v_fmac_f32_e32 v62, v90, v20
	v_sub_f32_e32 v0, v6, v14
	v_mov_b32_e32 v20, v15
	v_fmac_f32_e32 v20, 0x3f5db3d7, v0
	v_fmac_f32_e32 v15, 0xbf5db3d7, v0
	v_add_f32_e32 v0, v100, v8
	v_add_f32_e32 v10, v10, v14
	;; [unrolled: 1-line block ×4, first 2 shown]
	v_fmac_f32_e32 v100, -0.5, v0
	v_sub_f32_e32 v0, v9, v17
	v_mov_b32_e32 v7, v100
	v_fmac_f32_e32 v7, 0xbf5db3d7, v0
	v_fmac_f32_e32 v100, 0x3f5db3d7, v0
	v_add_f32_e32 v0, v44, v9
	v_add_f32_e32 v21, v0, v17
	;; [unrolled: 1-line block ×3, first 2 shown]
	v_fmac_f32_e32 v44, -0.5, v0
	v_sub_f32_e32 v0, v8, v16
	v_mov_b32_e32 v9, v44
	v_fmac_f32_e32 v9, 0x3f5db3d7, v0
	v_fmac_f32_e32 v44, 0xbf5db3d7, v0
	v_mul_f32_e32 v16, 0xbf5db3d7, v9
	v_fmac_f32_e32 v16, 0.5, v7
	v_mul_f32_e32 v17, 0xbf5db3d7, v44
	v_mul_f32_e32 v35, 0.5, v9
	v_add_f32_e32 v6, v12, v16
	v_fmac_f32_e32 v17, -0.5, v100
	v_fmac_f32_e32 v35, 0x3f5db3d7, v7
	v_sub_f32_e32 v12, v12, v16
	v_add_f32_e32 v16, v2, v24
	v_add_f32_e32 v0, v10, v14
	;; [unrolled: 1-line block ×5, first 2 shown]
	v_mul_f32_e32 v44, -0.5, v44
	v_sub_f32_e32 v10, v10, v14
	v_sub_f32_e32 v14, v11, v17
	;; [unrolled: 1-line block ×4, first 2 shown]
	v_add_f32_e32 v35, v16, v29
	v_add_f32_e32 v16, v24, v29
	v_fmac_f32_e32 v44, 0x3f5db3d7, v100
	v_fma_f32 v2, -0.5, v16, v2
	v_add_f32_e32 v9, v15, v44
	v_sub_f32_e32 v15, v15, v44
	v_sub_f32_e32 v16, v25, v18
	v_mov_b32_e32 v44, v2
	v_mul_f32_e32 v52, v67, v79
	v_fmac_f32_e32 v44, 0xbf5db3d7, v16
	v_fmac_f32_e32 v2, 0x3f5db3d7, v16
	v_add_f32_e32 v16, v3, v25
	v_fmac_f32_e32 v52, v66, v78
	v_add_f32_e32 v66, v16, v18
	v_add_f32_e32 v16, v25, v18
	v_fmac_f32_e32 v3, -0.5, v16
	v_sub_f32_e32 v16, v24, v29
	v_mov_b32_e32 v25, v3
	v_fmac_f32_e32 v25, 0x3f5db3d7, v16
	v_fmac_f32_e32 v3, 0xbf5db3d7, v16
	v_add_f32_e32 v16, v22, v40
	v_add_f32_e32 v24, v16, v19
	;; [unrolled: 1-line block ×3, first 2 shown]
	v_fmac_f32_e32 v22, -0.5, v16
	v_sub_f32_e32 v16, v28, v32
	v_mov_b32_e32 v21, v22
	v_fmac_f32_e32 v21, 0xbf5db3d7, v16
	v_fmac_f32_e32 v22, 0x3f5db3d7, v16
	v_add_f32_e32 v16, v23, v28
	v_add_f32_e32 v29, v16, v32
	;; [unrolled: 1-line block ×3, first 2 shown]
	v_fmac_f32_e32 v23, -0.5, v16
	v_sub_f32_e32 v16, v40, v19
	v_mov_b32_e32 v19, v23
	v_fmac_f32_e32 v19, 0x3f5db3d7, v16
	v_fmac_f32_e32 v23, 0xbf5db3d7, v16
	v_mul_f32_e32 v28, 0xbf5db3d7, v19
	v_fmac_f32_e32 v28, 0.5, v21
	v_mul_f32_e32 v32, 0xbf5db3d7, v23
	v_mul_f32_e32 v67, -0.5, v23
	v_add_f32_e32 v16, v35, v24
	v_add_f32_e32 v18, v44, v28
	v_fmac_f32_e32 v32, -0.5, v22
	v_fmac_f32_e32 v67, 0x3f5db3d7, v22
	v_sub_f32_e32 v22, v35, v24
	v_sub_f32_e32 v24, v44, v28
	v_add_f32_e32 v28, v36, v26
	v_add_f32_e32 v20, v2, v32
	v_sub_f32_e32 v2, v2, v32
	v_add_f32_e32 v32, v28, v31
	v_add_f32_e32 v28, v26, v31
	v_fma_f32 v35, -0.5, v28, v36
	v_sub_f32_e32 v28, v27, v43
	v_mov_b32_e32 v36, v35
	v_mul_f32_e32 v40, 0.5, v19
	v_fmac_f32_e32 v36, 0xbf5db3d7, v28
	v_fmac_f32_e32 v35, 0x3f5db3d7, v28
	v_add_f32_e32 v28, v37, v27
	v_add_f32_e32 v27, v27, v43
	v_fmac_f32_e32 v40, 0x3f5db3d7, v21
	v_fma_f32 v37, -0.5, v27, v37
	v_add_f32_e32 v19, v25, v40
	v_sub_f32_e32 v25, v25, v40
	v_add_f32_e32 v40, v28, v43
	v_sub_f32_e32 v26, v26, v31
	v_mov_b32_e32 v43, v37
	v_fmac_f32_e32 v43, 0x3f5db3d7, v26
	v_fmac_f32_e32 v37, 0xbf5db3d7, v26
	v_add_f32_e32 v26, v33, v42
	v_add_f32_e32 v44, v26, v45
	;; [unrolled: 1-line block ×3, first 2 shown]
	v_fmac_f32_e32 v33, -0.5, v26
	v_add_f32_e32 v17, v66, v29
	v_sub_f32_e32 v23, v66, v29
	v_sub_f32_e32 v26, v30, v34
	v_mov_b32_e32 v29, v33
	v_fmac_f32_e32 v29, 0xbf5db3d7, v26
	v_fmac_f32_e32 v33, 0x3f5db3d7, v26
	v_add_f32_e32 v26, v41, v30
	v_add_f32_e32 v66, v26, v34
	;; [unrolled: 1-line block ×3, first 2 shown]
	v_fmac_f32_e32 v41, -0.5, v26
	v_sub_f32_e32 v26, v42, v45
	v_mul_f32_e32 v48, v71, v75
	v_mov_b32_e32 v31, v41
	v_fmac_f32_e32 v41, 0xbf5db3d7, v26
	v_fmac_f32_e32 v48, v70, v74
	v_mul_f32_e32 v42, 0xbf5db3d7, v41
	v_mul_f32_e32 v41, -0.5, v41
	v_fmac_f32_e32 v42, -0.5, v33
	v_add_f32_e32 v27, v40, v66
	v_fmac_f32_e32 v41, 0x3f5db3d7, v33
	v_sub_f32_e32 v33, v40, v66
	v_add_f32_e32 v40, v38, v48
	v_add_f32_e32 v66, v40, v52
	;; [unrolled: 1-line block ×3, first 2 shown]
	v_fma_f32 v38, -0.5, v40, v38
	v_add_f32_e32 v21, v3, v67
	v_sub_f32_e32 v3, v3, v67
	v_sub_f32_e32 v40, v49, v53
	v_mov_b32_e32 v67, v38
	v_mul_f32_e32 v46, v69, v81
	v_fmac_f32_e32 v67, 0xbf5db3d7, v40
	v_fmac_f32_e32 v38, 0x3f5db3d7, v40
	v_add_f32_e32 v40, v39, v49
	v_fmac_f32_e32 v46, v68, v80
	v_add_f32_e32 v68, v40, v53
	v_add_f32_e32 v40, v49, v53
	v_fmac_f32_e32 v39, -0.5, v40
	v_fmac_f32_e32 v50, v64, v84
	v_mul_f32_e32 v54, v217, v93
	v_sub_f32_e32 v40, v48, v52
	v_mov_b32_e32 v49, v39
	v_fmac_f32_e32 v54, v216, v92
	v_fmac_f32_e32 v31, 0x3f5db3d7, v26
	;; [unrolled: 1-line block ×4, first 2 shown]
	v_add_f32_e32 v40, v46, v50
	v_mul_f32_e32 v34, 0xbf5db3d7, v31
	v_mul_f32_e32 v45, 0.5, v31
	v_add_f32_e32 v48, v40, v54
	v_add_f32_e32 v40, v50, v54
	v_fmac_f32_e32 v34, 0.5, v29
	v_fmac_f32_e32 v45, 0x3f5db3d7, v29
	v_fmac_f32_e32 v46, -0.5, v40
	v_add_f32_e32 v28, v36, v34
	v_add_f32_e32 v30, v35, v42
	;; [unrolled: 1-line block ×3, first 2 shown]
	v_sub_f32_e32 v34, v36, v34
	v_sub_f32_e32 v36, v35, v42
	;; [unrolled: 1-line block ×4, first 2 shown]
	v_mov_b32_e32 v43, v46
	v_fmac_f32_e32 v43, 0xbf5db3d7, v40
	v_fmac_f32_e32 v46, 0x3f5db3d7, v40
	v_add_f32_e32 v40, v47, v51
	v_add_f32_e32 v52, v40, v55
	v_add_f32_e32 v40, v51, v55
	v_fmac_f32_e32 v47, -0.5, v40
	v_sub_f32_e32 v40, v50, v54
	v_mov_b32_e32 v45, v47
	v_fmac_f32_e32 v45, 0x3f5db3d7, v40
	v_fmac_f32_e32 v47, 0xbf5db3d7, v40
	v_mul_f32_e32 v50, 0xbf5db3d7, v45
	v_fmac_f32_e32 v50, 0.5, v43
	v_mul_f32_e32 v51, 0xbf5db3d7, v47
	v_mul_f32_e32 v54, -0.5, v47
	v_add_f32_e32 v40, v66, v48
	v_add_f32_e32 v42, v67, v50
	v_fmac_f32_e32 v51, -0.5, v46
	v_fmac_f32_e32 v54, 0x3f5db3d7, v46
	v_sub_f32_e32 v46, v66, v48
	v_sub_f32_e32 v48, v67, v50
	v_add_f32_e32 v50, v4, v58
	v_add_f32_e32 v66, v50, v62
	;; [unrolled: 1-line block ×3, first 2 shown]
	v_fma_f32 v4, -0.5, v50, v4
	v_sub_f32_e32 v50, v59, v63
	v_mov_b32_e32 v67, v4
	v_fmac_f32_e32 v67, 0xbf5db3d7, v50
	v_fmac_f32_e32 v4, 0x3f5db3d7, v50
	v_add_f32_e32 v50, v5, v59
	v_add_f32_e32 v31, v37, v41
	v_sub_f32_e32 v37, v37, v41
	v_add_f32_e32 v41, v68, v52
	v_sub_f32_e32 v47, v68, v52
	v_add_f32_e32 v68, v50, v63
	v_add_f32_e32 v50, v59, v63
	v_mul_f32_e32 v56, v97, v83
	v_mul_f32_e32 v60, v89, v87
	v_fmac_f32_e32 v5, -0.5, v50
	v_fmac_f32_e32 v56, v96, v82
	v_fmac_f32_e32 v60, v88, v86
	v_mul_f32_e32 v64, v213, v95
	v_sub_f32_e32 v50, v58, v62
	v_mov_b32_e32 v59, v5
	v_fmac_f32_e32 v64, v212, v94
	v_fmac_f32_e32 v59, 0x3f5db3d7, v50
	;; [unrolled: 1-line block ×3, first 2 shown]
	v_add_f32_e32 v50, v56, v60
	v_mul_f32_e32 v53, 0.5, v45
	v_add_f32_e32 v58, v50, v64
	v_add_f32_e32 v50, v60, v64
	v_fmac_f32_e32 v53, 0x3f5db3d7, v43
	v_fmac_f32_e32 v56, -0.5, v50
	v_add_f32_e32 v43, v49, v53
	v_sub_f32_e32 v49, v49, v53
	v_sub_f32_e32 v50, v61, v65
	v_mov_b32_e32 v53, v56
	v_fmac_f32_e32 v53, 0xbf5db3d7, v50
	v_fmac_f32_e32 v56, 0x3f5db3d7, v50
	v_add_f32_e32 v50, v57, v61
	v_add_f32_e32 v62, v50, v65
	v_add_f32_e32 v50, v61, v65
	v_fmac_f32_e32 v57, -0.5, v50
	v_sub_f32_e32 v50, v60, v64
	v_mov_b32_e32 v55, v57
	v_fmac_f32_e32 v55, 0x3f5db3d7, v50
	v_fmac_f32_e32 v57, 0xbf5db3d7, v50
	ds_write_b64 v247, v[6:7] offset:4800
	ds_write_b64 v247, v[8:9] offset:9600
	;; [unrolled: 1-line block ×5, first 2 shown]
	ds_write2_b64 v247, v[0:1], v[16:17] offset1:120
	ds_write_b64 v247, v[22:23] offset:15360
	ds_write2_b64 v205, v[18:19], v[28:29] offset0:80 offset1:200
	v_add_u32_e32 v0, 0x2800, v247
	v_mul_f32_e32 v60, 0xbf5db3d7, v55
	v_mul_f32_e32 v61, 0xbf5db3d7, v57
	v_mul_f32_e32 v63, 0.5, v55
	v_mul_f32_e32 v64, -0.5, v57
	ds_write2_b64 v0, v[20:21], v[30:31] offset0:40 offset1:160
	v_add_u32_e32 v0, 0x4c00, v247
	v_add_f32_e32 v26, v32, v44
	v_sub_f32_e32 v32, v32, v44
	v_add_f32_e32 v44, v38, v51
	v_add_f32_e32 v45, v39, v54
	v_fmac_f32_e32 v60, 0.5, v53
	v_fmac_f32_e32 v61, -0.5, v56
	v_fmac_f32_e32 v63, 0x3f5db3d7, v53
	v_fmac_f32_e32 v64, 0x3f5db3d7, v56
	ds_write2_b64 v0, v[24:25], v[34:35] offset0:88 offset1:208
	ds_write2_b64 v207, v[2:3], v[36:37] offset0:48 offset1:168
	;; [unrolled: 1-line block ×3, first 2 shown]
	ds_write_b64 v247, v[44:45] offset:12480
	v_add_u32_e32 v0, 0x3c00, v247
	v_sub_f32_e32 v38, v38, v51
	v_sub_f32_e32 v39, v39, v54
	v_add_f32_e32 v50, v66, v58
	v_add_f32_e32 v52, v67, v60
	;; [unrolled: 1-line block ×6, first 2 shown]
	v_sub_f32_e32 v56, v66, v58
	v_sub_f32_e32 v58, v67, v60
	;; [unrolled: 1-line block ×6, first 2 shown]
	ds_write2_b64 v0, v[32:33], v[46:47] offset0:120 offset1:240
	ds_write_b64 v247, v[48:49] offset:22080
	ds_write_b64 v247, v[38:39] offset:26880
	;; [unrolled: 1-line block ×3, first 2 shown]
	ds_write2_b64 v245, v[42:43], v[52:53] offset0:64 offset1:184
	ds_write_b64 v247, v[54:55] offset:13440
	ds_write_b64 v247, v[56:57] offset:18240
	;; [unrolled: 1-line block ×4, first 2 shown]
	s_waitcnt lgkmcnt(0)
	s_barrier
	ds_read2_b64 v[10:13], v247 offset1:120
	v_mov_b32_e32 v30, 0xffff9e80
	s_waitcnt lgkmcnt(0)
	v_mul_f32_e32 v0, v249, v11
	v_fmac_f32_e32 v0, v248, v10
	v_cvt_f64_f32_e32 v[0:1], v0
	v_mul_f64 v[0:1], v[0:1], s[2:3]
	v_cvt_f32_f64_e32 v0, v[0:1]
	v_mul_f32_e32 v1, v249, v10
	v_fma_f32 v1, v248, v11, -v1
	v_cvt_f64_f32_e32 v[1:2], v1
	v_mul_f64 v[1:2], v[1:2], s[2:3]
	v_cvt_f32_f64_e32 v1, v[1:2]
	v_mad_u64_u32 v[2:3], s[4:5], s0, v238, 0
	v_mad_u64_u32 v[3:4], s[4:5], s1, v238, v[3:4]
	buffer_load_dword v4, off, s[24:27], 0 offset:180 ; 4-byte Folded Reload
	buffer_load_dword v5, off, s[24:27], 0 offset:184 ; 4-byte Folded Reload
	ds_read2_b64 v[14:17], v205 offset0:80 offset1:200
	v_lshlrev_b64 v[2:3], 3, v[2:3]
	s_mul_i32 s4, s1, 0xb40
	s_mul_hi_u32 s5, s0, 0xb40
	s_add_i32 s4, s5, s4
	s_mul_i32 s5, s0, 0xb40
	ds_read2_b64 v[20:23], v204 offset0:32 offset1:152
	s_waitcnt vmcnt(0)
	v_lshlrev_b64 v[4:5], 3, v[4:5]
	v_add_co_u32_e32 v28, vcc, s12, v4
	v_mov_b32_e32 v4, s13
	v_addc_co_u32_e32 v29, vcc, v4, v5, vcc
	v_add_co_u32_e32 v4, vcc, v28, v2
	v_addc_co_u32_e32 v5, vcc, v29, v3, vcc
	global_store_dwordx2 v[4:5], v[0:1], off
	ds_read2_b64 v[0:3], v203 offset0:112 offset1:232
	s_waitcnt lgkmcnt(0)
	v_mul_f32_e32 v6, v251, v3
	v_fmac_f32_e32 v6, v250, v2
	v_mul_f32_e32 v2, v251, v2
	v_fma_f32 v2, v250, v3, -v2
	v_cvt_f64_f32_e32 v[6:7], v6
	v_cvt_f64_f32_e32 v[2:3], v2
	v_mul_f64 v[6:7], v[6:7], s[2:3]
	v_mul_f64 v[2:3], v[2:3], s[2:3]
	v_cvt_f32_f64_e32 v6, v[6:7]
	v_cvt_f32_f64_e32 v7, v[2:3]
	v_add_co_u32_e32 v2, vcc, s5, v4
	v_mul_f32_e32 v4, v253, v15
	v_mov_b32_e32 v3, s4
	v_fmac_f32_e32 v4, v252, v14
	v_addc_co_u32_e32 v3, vcc, v5, v3, vcc
	v_cvt_f64_f32_e32 v[4:5], v4
	global_store_dwordx2 v[2:3], v[6:7], off
	v_mul_f64 v[4:5], v[4:5], s[2:3]
	v_cvt_f32_f64_e32 v4, v[4:5]
	v_mul_f32_e32 v5, v253, v14
	v_fma_f32 v5, v252, v15, -v5
	v_cvt_f64_f32_e32 v[5:6], v5
	v_mul_f64 v[5:6], v[5:6], s[2:3]
	v_cvt_f32_f64_e32 v5, v[5:6]
	v_add_co_u32_e32 v6, vcc, s5, v2
	v_mov_b32_e32 v2, s4
	v_addc_co_u32_e32 v7, vcc, v3, v2, vcc
	global_store_dwordx2 v[6:7], v[4:5], off
	ds_read2_b64 v[2:5], v245 offset0:64 offset1:184
	s_waitcnt lgkmcnt(0)
	v_mul_f32_e32 v8, v255, v5
	v_fmac_f32_e32 v8, v254, v4
	v_mul_f32_e32 v4, v255, v4
	v_fma_f32 v4, v254, v5, -v4
	v_cvt_f64_f32_e32 v[8:9], v8
	v_cvt_f64_f32_e32 v[4:5], v4
	v_mul_f64 v[8:9], v[8:9], s[2:3]
	v_mul_f64 v[4:5], v[4:5], s[2:3]
	v_cvt_f32_f64_e32 v8, v[8:9]
	v_cvt_f32_f64_e32 v9, v[4:5]
	v_add_co_u32_e32 v4, vcc, s5, v6
	v_mov_b32_e32 v5, s4
	v_addc_co_u32_e32 v5, vcc, v7, v5, vcc
	global_store_dwordx2 v[4:5], v[8:9], off
	buffer_load_dword v7, off, s[24:27], 0 offset:288 ; 4-byte Folded Reload
	s_nop 0
	buffer_load_dword v8, off, s[24:27], 0 offset:292 ; 4-byte Folded Reload
	s_waitcnt vmcnt(0)
	v_mul_f32_e32 v6, v8, v21
	v_fmac_f32_e32 v6, v7, v20
	v_mov_b32_e32 v9, v8
	v_mov_b32_e32 v8, v7
	v_cvt_f64_f32_e32 v[6:7], v6
	v_mul_f64 v[6:7], v[6:7], s[2:3]
	v_cvt_f32_f64_e32 v6, v[6:7]
	v_mul_f32_e32 v7, v9, v20
	v_fma_f32 v7, v8, v21, -v7
	v_cvt_f64_f32_e32 v[7:8], v7
	v_mul_f64 v[7:8], v[7:8], s[2:3]
	v_cvt_f32_f64_e32 v7, v[7:8]
	v_add_co_u32_e32 v8, vcc, s5, v4
	v_mov_b32_e32 v4, s4
	v_addc_co_u32_e32 v9, vcc, v5, v4, vcc
	global_store_dwordx2 v[8:9], v[6:7], off
	ds_read2_b64 v[4:7], v239 offset0:16 offset1:136
	buffer_load_dword v14, off, s[24:27], 0 offset:280 ; 4-byte Folded Reload
	buffer_load_dword v15, off, s[24:27], 0 offset:284 ; 4-byte Folded Reload
	ds_read2_b64 v[18:21], v202 offset0:112 offset1:232
	s_waitcnt vmcnt(0) lgkmcnt(1)
	v_mul_f32_e32 v10, v15, v7
	v_fmac_f32_e32 v10, v14, v6
	v_mul_f32_e32 v6, v15, v6
	v_fma_f32 v6, v14, v7, -v6
	v_cvt_f64_f32_e32 v[10:11], v10
	v_cvt_f64_f32_e32 v[6:7], v6
	v_mul_f64 v[10:11], v[10:11], s[2:3]
	v_mul_f64 v[6:7], v[6:7], s[2:3]
	v_cvt_f32_f64_e32 v10, v[10:11]
	v_cvt_f32_f64_e32 v11, v[6:7]
	v_add_co_u32_e32 v6, vcc, s5, v8
	v_mov_b32_e32 v7, s4
	v_addc_co_u32_e32 v7, vcc, v9, v7, vcc
	global_store_dwordx2 v[6:7], v[10:11], off
	buffer_load_dword v9, off, s[24:27], 0 offset:272 ; 4-byte Folded Reload
	s_nop 0
	buffer_load_dword v10, off, s[24:27], 0 offset:276 ; 4-byte Folded Reload
	s_waitcnt vmcnt(0) lgkmcnt(0)
	v_mul_f32_e32 v8, v10, v19
	v_fmac_f32_e32 v8, v9, v18
	v_mov_b32_e32 v11, v10
	v_mov_b32_e32 v10, v9
	v_cvt_f64_f32_e32 v[8:9], v8
	v_mul_f64 v[8:9], v[8:9], s[2:3]
	v_cvt_f32_f64_e32 v8, v[8:9]
	v_mul_f32_e32 v9, v11, v18
	v_fma_f32 v9, v10, v19, -v9
	v_cvt_f64_f32_e32 v[9:10], v9
	v_mul_f64 v[9:10], v[9:10], s[2:3]
	v_cvt_f32_f64_e32 v9, v[9:10]
	v_add_co_u32_e32 v10, vcc, s5, v6
	v_mov_b32_e32 v6, s4
	v_addc_co_u32_e32 v11, vcc, v7, v6, vcc
	global_store_dwordx2 v[10:11], v[8:9], off
	ds_read2_b64 v[6:9], v241 offset0:96 offset1:216
	buffer_load_dword v18, off, s[24:27], 0 offset:164 ; 4-byte Folded Reload
	buffer_load_dword v19, off, s[24:27], 0 offset:168 ; 4-byte Folded Reload
	ds_read2_b64 v[24:27], v244 offset0:64 offset1:184
	s_waitcnt vmcnt(0) lgkmcnt(1)
	v_mul_f32_e32 v14, v19, v9
	v_fmac_f32_e32 v14, v18, v8
	v_mul_f32_e32 v8, v19, v8
	v_fma_f32 v8, v18, v9, -v8
	v_cvt_f64_f32_e32 v[14:15], v14
	v_cvt_f64_f32_e32 v[8:9], v8
	v_mul_f64 v[14:15], v[14:15], s[2:3]
	v_mul_f64 v[8:9], v[8:9], s[2:3]
	v_cvt_f32_f64_e32 v14, v[14:15]
	v_cvt_f32_f64_e32 v15, v[8:9]
	v_add_co_u32_e32 v8, vcc, s5, v10
	v_mov_b32_e32 v9, s4
	v_addc_co_u32_e32 v9, vcc, v11, v9, vcc
	global_store_dwordx2 v[8:9], v[14:15], off
	buffer_load_dword v14, off, s[24:27], 0 offset:148 ; 4-byte Folded Reload
	s_nop 0
	buffer_load_dword v15, off, s[24:27], 0 offset:152 ; 4-byte Folded Reload
	s_waitcnt vmcnt(0) lgkmcnt(0)
	v_mul_f32_e32 v10, v15, v25
	v_fmac_f32_e32 v10, v14, v24
	v_cvt_f64_f32_e32 v[10:11], v10
	v_mul_f64 v[10:11], v[10:11], s[2:3]
	v_cvt_f32_f64_e32 v10, v[10:11]
	v_mul_f32_e32 v11, v15, v24
	v_fma_f32 v11, v14, v25, -v11
	v_cvt_f64_f32_e32 v[14:15], v11
	v_mul_f64 v[14:15], v[14:15], s[2:3]
	v_cvt_f32_f64_e32 v11, v[14:15]
	v_add_co_u32_e32 v14, vcc, s5, v8
	v_mov_b32_e32 v8, s4
	v_addc_co_u32_e32 v15, vcc, v9, v8, vcc
	global_store_dwordx2 v[14:15], v[10:11], off
	ds_read2_b64 v[8:11], v207 offset0:48 offset1:168
	buffer_load_dword v24, off, s[24:27], 0 offset:92 ; 4-byte Folded Reload
	buffer_load_dword v25, off, s[24:27], 0 offset:96 ; 4-byte Folded Reload
	s_waitcnt vmcnt(0) lgkmcnt(0)
	v_mul_f32_e32 v18, v25, v11
	v_fmac_f32_e32 v18, v24, v10
	v_mul_f32_e32 v10, v25, v10
	v_fma_f32 v10, v24, v11, -v10
	v_cvt_f64_f32_e32 v[18:19], v18
	v_cvt_f64_f32_e32 v[10:11], v10
	v_mul_f64 v[18:19], v[18:19], s[2:3]
	v_mul_f64 v[10:11], v[10:11], s[2:3]
	v_cvt_f32_f64_e32 v18, v[18:19]
	v_cvt_f32_f64_e32 v19, v[10:11]
	v_add_co_u32_e32 v10, vcc, s5, v14
	v_mov_b32_e32 v11, s4
	v_addc_co_u32_e32 v11, vcc, v15, v11, vcc
	global_store_dwordx2 v[10:11], v[18:19], off
	buffer_load_dword v18, off, s[24:27], 0 offset:172 ; 4-byte Folded Reload
	s_nop 0
	buffer_load_dword v19, off, s[24:27], 0 offset:176 ; 4-byte Folded Reload
	s_waitcnt vmcnt(0)
	v_mul_f32_e32 v14, v19, v13
	v_fmac_f32_e32 v14, v18, v12
	v_mul_f32_e32 v12, v19, v12
	v_fma_f32 v12, v18, v13, -v12
	v_cvt_f64_f32_e32 v[14:15], v14
	v_cvt_f64_f32_e32 v[12:13], v12
	v_mad_u64_u32 v[18:19], s[6:7], s0, v30, v[10:11]
	v_mul_f64 v[14:15], v[14:15], s[2:3]
	v_mul_f64 v[12:13], v[12:13], s[2:3]
	s_mul_i32 s6, s1, 0xffff9e80
	s_sub_i32 s6, s6, s0
	v_add_u32_e32 v19, s6, v19
	v_cvt_f32_f64_e32 v14, v[14:15]
	v_cvt_f32_f64_e32 v15, v[12:13]
	ds_read2_b64 v[10:13], v242 offset0:96 offset1:216
	global_store_dwordx2 v[18:19], v[14:15], off
	buffer_load_dword v24, off, s[24:27], 0 offset:156 ; 4-byte Folded Reload
	buffer_load_dword v25, off, s[24:27], 0 offset:160 ; 4-byte Folded Reload
	s_waitcnt vmcnt(0) lgkmcnt(0)
	v_mul_f32_e32 v14, v25, v11
	v_fmac_f32_e32 v14, v24, v10
	v_mul_f32_e32 v10, v25, v10
	v_fma_f32 v10, v24, v11, -v10
	v_cvt_f64_f32_e32 v[14:15], v14
	v_cvt_f64_f32_e32 v[10:11], v10
	v_mul_f64 v[14:15], v[14:15], s[2:3]
	v_mul_f64 v[10:11], v[10:11], s[2:3]
	v_cvt_f32_f64_e32 v14, v[14:15]
	v_cvt_f32_f64_e32 v15, v[10:11]
	v_add_co_u32_e32 v10, vcc, s5, v18
	v_mov_b32_e32 v11, s4
	v_addc_co_u32_e32 v11, vcc, v19, v11, vcc
	global_store_dwordx2 v[10:11], v[14:15], off
	buffer_load_dword v18, off, s[24:27], 0 offset:100 ; 4-byte Folded Reload
	buffer_load_dword v19, off, s[24:27], 0 offset:104 ; 4-byte Folded Reload
	v_add_co_u32_e32 v10, vcc, s5, v10
	s_waitcnt vmcnt(0)
	v_mul_f32_e32 v14, v19, v17
	v_fmac_f32_e32 v14, v18, v16
	v_cvt_f64_f32_e32 v[14:15], v14
	v_mul_f64 v[14:15], v[14:15], s[2:3]
	v_cvt_f32_f64_e32 v14, v[14:15]
	v_mul_f32_e32 v15, v19, v16
	v_fma_f32 v15, v18, v17, -v15
	v_cvt_f64_f32_e32 v[15:16], v15
	v_mul_f64 v[15:16], v[15:16], s[2:3]
	v_cvt_f32_f64_e32 v15, v[15:16]
	v_mov_b32_e32 v16, s4
	v_addc_co_u32_e32 v11, vcc, v11, v16, vcc
	global_store_dwordx2 v[10:11], v[14:15], off
	ds_read2_b64 v[14:17], v240 offset0:48 offset1:168
	buffer_load_dword v24, off, s[24:27], 0 offset:60 ; 4-byte Folded Reload
	buffer_load_dword v25, off, s[24:27], 0 offset:64 ; 4-byte Folded Reload
	v_add_co_u32_e32 v10, vcc, s5, v10
	s_waitcnt vmcnt(0) lgkmcnt(0)
	v_mul_f32_e32 v18, v25, v15
	v_fmac_f32_e32 v18, v24, v14
	v_mul_f32_e32 v14, v25, v14
	v_fma_f32 v14, v24, v15, -v14
	v_cvt_f64_f32_e32 v[18:19], v18
	v_cvt_f64_f32_e32 v[14:15], v14
	v_mul_f64 v[18:19], v[18:19], s[2:3]
	v_mul_f64 v[14:15], v[14:15], s[2:3]
	v_cvt_f32_f64_e32 v18, v[18:19]
	v_cvt_f32_f64_e32 v19, v[14:15]
	v_mov_b32_e32 v14, s4
	v_addc_co_u32_e32 v11, vcc, v11, v14, vcc
	global_store_dwordx2 v[10:11], v[18:19], off
	buffer_load_dword v18, off, s[24:27], 0 offset:32 ; 4-byte Folded Reload
	s_nop 0
	buffer_load_dword v19, off, s[24:27], 0 offset:36 ; 4-byte Folded Reload
	v_add_co_u32_e32 v10, vcc, s5, v10
	s_waitcnt vmcnt(0)
	v_mul_f32_e32 v14, v19, v23
	v_fmac_f32_e32 v14, v18, v22
	v_cvt_f64_f32_e32 v[14:15], v14
	v_mul_f64 v[14:15], v[14:15], s[2:3]
	v_cvt_f32_f64_e32 v14, v[14:15]
	v_mul_f32_e32 v15, v19, v22
	v_fma_f32 v15, v18, v23, -v15
	v_cvt_f64_f32_e32 v[18:19], v15
	ds_read2_b64 v[22:25], v148 offset0:128 offset1:248
	v_mul_f64 v[18:19], v[18:19], s[2:3]
	v_cvt_f32_f64_e32 v15, v[18:19]
	v_mov_b32_e32 v18, s4
	v_addc_co_u32_e32 v11, vcc, v11, v18, vcc
	global_store_dwordx2 v[10:11], v[14:15], off
	buffer_load_dword v18, off, s[24:27], 0 offset:68 ; 4-byte Folded Reload
	buffer_load_dword v19, off, s[24:27], 0 offset:72 ; 4-byte Folded Reload
	s_waitcnt vmcnt(0) lgkmcnt(0)
	v_mul_f32_e32 v14, v19, v23
	v_fmac_f32_e32 v14, v18, v22
	v_cvt_f64_f32_e32 v[14:15], v14
	v_mul_f64 v[14:15], v[14:15], s[2:3]
	v_cvt_f32_f64_e32 v14, v[14:15]
	v_mul_f32_e32 v15, v19, v22
	buffer_load_dword v22, off, s[24:27], 0 offset:40 ; 4-byte Folded Reload
	v_fma_f32 v15, v18, v23, -v15
	v_cvt_f64_f32_e32 v[18:19], v15
	v_mul_f64 v[18:19], v[18:19], s[2:3]
	v_cvt_f32_f64_e32 v15, v[18:19]
	s_waitcnt vmcnt(0)
	v_mad_u64_u32 v[18:19], s[8:9], s0, v22, 0
	v_mad_u64_u32 v[22:23], s[8:9], s1, v22, v[19:20]
	s_mulk_i32 s1, 0x1680
	v_mov_b32_e32 v19, v22
	v_lshlrev_b64 v[18:19], 3, v[18:19]
	v_add_co_u32_e32 v18, vcc, v28, v18
	v_addc_co_u32_e32 v19, vcc, v29, v19, vcc
	global_store_dwordx2 v[18:19], v[14:15], off
	buffer_load_dword v18, off, s[24:27], 0 offset:24 ; 4-byte Folded Reload
	s_nop 0
	buffer_load_dword v19, off, s[24:27], 0 offset:28 ; 4-byte Folded Reload
	s_waitcnt vmcnt(0)
	v_mul_f32_e32 v14, v19, v21
	v_fmac_f32_e32 v14, v18, v20
	v_cvt_f64_f32_e32 v[14:15], v14
	v_mul_f64 v[14:15], v[14:15], s[2:3]
	v_cvt_f32_f64_e32 v14, v[14:15]
	v_mul_f32_e32 v15, v19, v20
	v_fma_f32 v15, v18, v21, -v15
	v_cvt_f64_f32_e32 v[18:19], v15
	v_mul_f64 v[18:19], v[18:19], s[2:3]
	v_cvt_f32_f64_e32 v15, v[18:19]
	v_mov_b32_e32 v18, 0x1680
	v_mad_u64_u32 v[10:11], s[8:9], s0, v18, v[10:11]
	ds_read2_b64 v[18:21], v206 offset0:80 offset1:200
	v_add_u32_e32 v11, s1, v11
	global_store_dwordx2 v[10:11], v[14:15], off
	buffer_load_dword v22, off, s[24:27], 0 offset:16 ; 4-byte Folded Reload
	buffer_load_dword v23, off, s[24:27], 0 offset:20 ; 4-byte Folded Reload
	v_add_co_u32_e32 v10, vcc, s5, v10
	s_waitcnt vmcnt(0) lgkmcnt(0)
	v_mul_f32_e32 v14, v23, v19
	v_fmac_f32_e32 v14, v22, v18
	v_cvt_f64_f32_e32 v[14:15], v14
	v_mul_f64 v[14:15], v[14:15], s[2:3]
	v_cvt_f32_f64_e32 v14, v[14:15]
	v_mul_f32_e32 v15, v23, v18
	v_fma_f32 v15, v22, v19, -v15
	v_cvt_f64_f32_e32 v[18:19], v15
	v_mul_f64 v[18:19], v[18:19], s[2:3]
	v_cvt_f32_f64_e32 v15, v[18:19]
	v_mov_b32_e32 v18, s4
	v_addc_co_u32_e32 v11, vcc, v11, v18, vcc
	global_store_dwordx2 v[10:11], v[14:15], off
	buffer_load_dword v18, off, s[24:27], 0 offset:8 ; 4-byte Folded Reload
	buffer_load_dword v19, off, s[24:27], 0 offset:12 ; 4-byte Folded Reload
	v_add_co_u32_e32 v10, vcc, s5, v10
	s_waitcnt vmcnt(0)
	v_mul_f32_e32 v14, v19, v27
	v_fmac_f32_e32 v14, v18, v26
	v_cvt_f64_f32_e32 v[14:15], v14
	v_mul_f64 v[14:15], v[14:15], s[2:3]
	v_cvt_f32_f64_e32 v14, v[14:15]
	v_mul_f32_e32 v15, v19, v26
	v_fma_f32 v15, v18, v27, -v15
	v_cvt_f64_f32_e32 v[18:19], v15
	ds_read2_b64 v[26:29], v149 offset0:32 offset1:152
	v_mul_f64 v[18:19], v[18:19], s[2:3]
	v_cvt_f32_f64_e32 v15, v[18:19]
	v_mov_b32_e32 v18, s4
	v_addc_co_u32_e32 v11, vcc, v11, v18, vcc
	global_store_dwordx2 v[10:11], v[14:15], off
	buffer_load_dword v18, off, s[24:27], 0 ; 4-byte Folded Reload
	buffer_load_dword v19, off, s[24:27], 0 offset:4 ; 4-byte Folded Reload
	v_add_co_u32_e32 v10, vcc, s5, v10
	s_waitcnt vmcnt(0) lgkmcnt(0)
	v_mul_f32_e32 v14, v19, v27
	v_fmac_f32_e32 v14, v18, v26
	v_cvt_f64_f32_e32 v[14:15], v14
	v_mul_f64 v[14:15], v[14:15], s[2:3]
	v_cvt_f32_f64_e32 v14, v[14:15]
	v_mul_f32_e32 v15, v19, v26
	v_fma_f32 v15, v18, v27, -v15
	v_cvt_f64_f32_e32 v[18:19], v15
	v_mul_f64 v[18:19], v[18:19], s[2:3]
	v_cvt_f32_f64_e32 v15, v[18:19]
	v_mov_b32_e32 v18, s4
	v_addc_co_u32_e32 v11, vcc, v11, v18, vcc
	global_store_dwordx2 v[10:11], v[14:15], off
	buffer_load_dword v18, off, s[24:27], 0 offset:52 ; 4-byte Folded Reload
	buffer_load_dword v19, off, s[24:27], 0 offset:56 ; 4-byte Folded Reload
	s_waitcnt vmcnt(0)
	v_mul_f32_e32 v14, v19, v1
	v_fmac_f32_e32 v14, v18, v0
	v_mul_f32_e32 v0, v19, v0
	v_fma_f32 v0, v18, v1, -v0
	v_cvt_f64_f32_e32 v[14:15], v14
	v_cvt_f64_f32_e32 v[0:1], v0
	v_mul_f64 v[14:15], v[14:15], s[2:3]
	v_mul_f64 v[0:1], v[0:1], s[2:3]
	v_cvt_f32_f64_e32 v14, v[14:15]
	v_cvt_f32_f64_e32 v15, v[0:1]
	v_mad_u64_u32 v[0:1], s[0:1], s0, v30, v[10:11]
	v_add_u32_e32 v1, s6, v1
	global_store_dwordx2 v[0:1], v[14:15], off
	buffer_load_dword v14, off, s[24:27], 0 offset:44 ; 4-byte Folded Reload
	s_nop 0
	buffer_load_dword v15, off, s[24:27], 0 offset:48 ; 4-byte Folded Reload
	v_add_co_u32_e32 v0, vcc, s5, v0
	s_waitcnt vmcnt(0)
	v_mul_f32_e32 v10, v15, v13
	v_fmac_f32_e32 v10, v14, v12
	v_cvt_f64_f32_e32 v[10:11], v10
	v_mul_f64 v[10:11], v[10:11], s[2:3]
	v_cvt_f32_f64_e32 v10, v[10:11]
	v_mul_f32_e32 v11, v15, v12
	v_fma_f32 v11, v14, v13, -v11
	v_cvt_f64_f32_e32 v[11:12], v11
	v_mul_f64 v[11:12], v[11:12], s[2:3]
	v_cvt_f32_f64_e32 v11, v[11:12]
	v_mov_b32_e32 v12, s4
	v_addc_co_u32_e32 v1, vcc, v1, v12, vcc
	global_store_dwordx2 v[0:1], v[10:11], off
	buffer_load_dword v11, off, s[24:27], 0 offset:140 ; 4-byte Folded Reload
	s_nop 0
	buffer_load_dword v12, off, s[24:27], 0 offset:144 ; 4-byte Folded Reload
	v_add_co_u32_e32 v0, vcc, s5, v0
	s_waitcnt vmcnt(0)
	v_mul_f32_e32 v10, v12, v3
	v_mov_b32_e32 v13, v12
	v_fmac_f32_e32 v10, v11, v2
	v_mov_b32_e32 v12, v11
	v_mul_f32_e32 v2, v13, v2
	v_fma_f32 v2, v12, v3, -v2
	v_cvt_f64_f32_e32 v[10:11], v10
	v_cvt_f64_f32_e32 v[2:3], v2
	v_mul_f64 v[10:11], v[10:11], s[2:3]
	v_mul_f64 v[2:3], v[2:3], s[2:3]
	v_cvt_f32_f64_e32 v10, v[10:11]
	v_cvt_f32_f64_e32 v11, v[2:3]
	v_mov_b32_e32 v2, s4
	v_addc_co_u32_e32 v1, vcc, v1, v2, vcc
	global_store_dwordx2 v[0:1], v[10:11], off
	buffer_load_dword v10, off, s[24:27], 0 offset:132 ; 4-byte Folded Reload
	s_nop 0
	buffer_load_dword v11, off, s[24:27], 0 offset:136 ; 4-byte Folded Reload
	v_add_co_u32_e32 v0, vcc, s5, v0
	s_waitcnt vmcnt(0)
	v_mul_f32_e32 v2, v11, v17
	v_fmac_f32_e32 v2, v10, v16
	v_cvt_f64_f32_e32 v[2:3], v2
	v_mul_f64 v[2:3], v[2:3], s[2:3]
	v_cvt_f32_f64_e32 v2, v[2:3]
	v_mul_f32_e32 v3, v11, v16
	v_fma_f32 v3, v10, v17, -v3
	v_cvt_f64_f32_e32 v[10:11], v3
	v_mul_f64 v[10:11], v[10:11], s[2:3]
	v_cvt_f32_f64_e32 v3, v[10:11]
	v_mov_b32_e32 v10, s4
	v_addc_co_u32_e32 v1, vcc, v1, v10, vcc
	global_store_dwordx2 v[0:1], v[2:3], off
	buffer_load_dword v10, off, s[24:27], 0 offset:84 ; 4-byte Folded Reload
	buffer_load_dword v11, off, s[24:27], 0 offset:88 ; 4-byte Folded Reload
	v_add_co_u32_e32 v0, vcc, s5, v0
	s_waitcnt vmcnt(0)
	v_mul_f32_e32 v2, v11, v5
	v_fmac_f32_e32 v2, v10, v4
	v_cvt_f64_f32_e32 v[2:3], v2
	v_mul_f64 v[2:3], v[2:3], s[2:3]
	v_cvt_f32_f64_e32 v2, v[2:3]
	v_mul_f32_e32 v3, v11, v4
	v_fma_f32 v3, v10, v5, -v3
	v_cvt_f64_f32_e32 v[3:4], v3
	v_mul_f64 v[3:4], v[3:4], s[2:3]
	v_cvt_f32_f64_e32 v3, v[3:4]
	v_mov_b32_e32 v4, s4
	v_addc_co_u32_e32 v1, vcc, v1, v4, vcc
	global_store_dwordx2 v[0:1], v[2:3], off
	buffer_load_dword v3, off, s[24:27], 0 offset:116 ; 4-byte Folded Reload
	s_nop 0
	buffer_load_dword v4, off, s[24:27], 0 offset:120 ; 4-byte Folded Reload
	v_add_co_u32_e32 v0, vcc, s5, v0
	s_waitcnt vmcnt(0)
	v_mul_f32_e32 v2, v4, v25
	v_fmac_f32_e32 v2, v3, v24
	v_mov_b32_e32 v5, v4
	v_mov_b32_e32 v4, v3
	v_cvt_f64_f32_e32 v[2:3], v2
	v_mul_f64 v[2:3], v[2:3], s[2:3]
	v_cvt_f32_f64_e32 v2, v[2:3]
	v_mul_f32_e32 v3, v5, v24
	v_fma_f32 v3, v4, v25, -v3
	v_cvt_f64_f32_e32 v[3:4], v3
	v_mul_f64 v[3:4], v[3:4], s[2:3]
	v_cvt_f32_f64_e32 v3, v[3:4]
	v_mov_b32_e32 v4, s4
	v_addc_co_u32_e32 v1, vcc, v1, v4, vcc
	global_store_dwordx2 v[0:1], v[2:3], off
	buffer_load_dword v3, off, s[24:27], 0 offset:108 ; 4-byte Folded Reload
	s_nop 0
	buffer_load_dword v4, off, s[24:27], 0 offset:112 ; 4-byte Folded Reload
	v_add_co_u32_e32 v0, vcc, s5, v0
	s_waitcnt vmcnt(0)
	v_mul_f32_e32 v2, v4, v7
	v_fmac_f32_e32 v2, v3, v6
	v_mov_b32_e32 v5, v4
	v_mov_b32_e32 v4, v3
	;; [unrolled: 20-line block ×5, first 2 shown]
	v_cvt_f64_f32_e32 v[2:3], v2
	v_mul_f64 v[2:3], v[2:3], s[2:3]
	v_cvt_f32_f64_e32 v2, v[2:3]
	v_mul_f32_e32 v3, v5, v28
	v_fma_f32 v3, v4, v29, -v3
	v_cvt_f64_f32_e32 v[3:4], v3
	v_mul_f64 v[3:4], v[3:4], s[2:3]
	v_cvt_f32_f64_e32 v3, v[3:4]
	v_mov_b32_e32 v4, s4
	v_addc_co_u32_e32 v1, vcc, v1, v4, vcc
	global_store_dwordx2 v[0:1], v[2:3], off
.LBB0_2:
	s_endpgm
	.section	.rodata,"a",@progbits
	.p2align	6, 0x0
	.amdhsa_kernel bluestein_single_back_len3600_dim1_sp_op_CI_CI
		.amdhsa_group_segment_fixed_size 28800
		.amdhsa_private_segment_fixed_size 300
		.amdhsa_kernarg_size 104
		.amdhsa_user_sgpr_count 6
		.amdhsa_user_sgpr_private_segment_buffer 1
		.amdhsa_user_sgpr_dispatch_ptr 0
		.amdhsa_user_sgpr_queue_ptr 0
		.amdhsa_user_sgpr_kernarg_segment_ptr 1
		.amdhsa_user_sgpr_dispatch_id 0
		.amdhsa_user_sgpr_flat_scratch_init 0
		.amdhsa_user_sgpr_private_segment_size 0
		.amdhsa_uses_dynamic_stack 0
		.amdhsa_system_sgpr_private_segment_wavefront_offset 1
		.amdhsa_system_sgpr_workgroup_id_x 1
		.amdhsa_system_sgpr_workgroup_id_y 0
		.amdhsa_system_sgpr_workgroup_id_z 0
		.amdhsa_system_sgpr_workgroup_info 0
		.amdhsa_system_vgpr_workitem_id 0
		.amdhsa_next_free_vgpr 256
		.amdhsa_next_free_sgpr 28
		.amdhsa_reserve_vcc 1
		.amdhsa_reserve_flat_scratch 0
		.amdhsa_float_round_mode_32 0
		.amdhsa_float_round_mode_16_64 0
		.amdhsa_float_denorm_mode_32 3
		.amdhsa_float_denorm_mode_16_64 3
		.amdhsa_dx10_clamp 1
		.amdhsa_ieee_mode 1
		.amdhsa_fp16_overflow 0
		.amdhsa_exception_fp_ieee_invalid_op 0
		.amdhsa_exception_fp_denorm_src 0
		.amdhsa_exception_fp_ieee_div_zero 0
		.amdhsa_exception_fp_ieee_overflow 0
		.amdhsa_exception_fp_ieee_underflow 0
		.amdhsa_exception_fp_ieee_inexact 0
		.amdhsa_exception_int_div_zero 0
	.end_amdhsa_kernel
	.text
.Lfunc_end0:
	.size	bluestein_single_back_len3600_dim1_sp_op_CI_CI, .Lfunc_end0-bluestein_single_back_len3600_dim1_sp_op_CI_CI
                                        ; -- End function
	.section	.AMDGPU.csdata,"",@progbits
; Kernel info:
; codeLenInByte = 30812
; NumSgprs: 32
; NumVgprs: 256
; ScratchSize: 300
; MemoryBound: 0
; FloatMode: 240
; IeeeMode: 1
; LDSByteSize: 28800 bytes/workgroup (compile time only)
; SGPRBlocks: 3
; VGPRBlocks: 63
; NumSGPRsForWavesPerEU: 32
; NumVGPRsForWavesPerEU: 256
; Occupancy: 1
; WaveLimiterHint : 1
; COMPUTE_PGM_RSRC2:SCRATCH_EN: 1
; COMPUTE_PGM_RSRC2:USER_SGPR: 6
; COMPUTE_PGM_RSRC2:TRAP_HANDLER: 0
; COMPUTE_PGM_RSRC2:TGID_X_EN: 1
; COMPUTE_PGM_RSRC2:TGID_Y_EN: 0
; COMPUTE_PGM_RSRC2:TGID_Z_EN: 0
; COMPUTE_PGM_RSRC2:TIDIG_COMP_CNT: 0
	.type	__hip_cuid_e83e93963f9ca3b,@object ; @__hip_cuid_e83e93963f9ca3b
	.section	.bss,"aw",@nobits
	.globl	__hip_cuid_e83e93963f9ca3b
__hip_cuid_e83e93963f9ca3b:
	.byte	0                               ; 0x0
	.size	__hip_cuid_e83e93963f9ca3b, 1

	.ident	"AMD clang version 19.0.0git (https://github.com/RadeonOpenCompute/llvm-project roc-6.4.0 25133 c7fe45cf4b819c5991fe208aaa96edf142730f1d)"
	.section	".note.GNU-stack","",@progbits
	.addrsig
	.addrsig_sym __hip_cuid_e83e93963f9ca3b
	.amdgpu_metadata
---
amdhsa.kernels:
  - .args:
      - .actual_access:  read_only
        .address_space:  global
        .offset:         0
        .size:           8
        .value_kind:     global_buffer
      - .actual_access:  read_only
        .address_space:  global
        .offset:         8
        .size:           8
        .value_kind:     global_buffer
      - .actual_access:  read_only
        .address_space:  global
        .offset:         16
        .size:           8
        .value_kind:     global_buffer
      - .actual_access:  read_only
        .address_space:  global
        .offset:         24
        .size:           8
        .value_kind:     global_buffer
      - .actual_access:  read_only
        .address_space:  global
        .offset:         32
        .size:           8
        .value_kind:     global_buffer
      - .offset:         40
        .size:           8
        .value_kind:     by_value
      - .address_space:  global
        .offset:         48
        .size:           8
        .value_kind:     global_buffer
      - .address_space:  global
        .offset:         56
        .size:           8
        .value_kind:     global_buffer
      - .address_space:  global
        .offset:         64
        .size:           8
        .value_kind:     global_buffer
      - .address_space:  global
        .offset:         72
        .size:           8
        .value_kind:     global_buffer
      - .offset:         80
        .size:           4
        .value_kind:     by_value
      - .address_space:  global
        .offset:         88
        .size:           8
        .value_kind:     global_buffer
      - .address_space:  global
        .offset:         96
        .size:           8
        .value_kind:     global_buffer
    .group_segment_fixed_size: 28800
    .kernarg_segment_align: 8
    .kernarg_segment_size: 104
    .language:       OpenCL C
    .language_version:
      - 2
      - 0
    .max_flat_workgroup_size: 120
    .name:           bluestein_single_back_len3600_dim1_sp_op_CI_CI
    .private_segment_fixed_size: 300
    .sgpr_count:     32
    .sgpr_spill_count: 0
    .symbol:         bluestein_single_back_len3600_dim1_sp_op_CI_CI.kd
    .uniform_work_group_size: 1
    .uses_dynamic_stack: false
    .vgpr_count:     256
    .vgpr_spill_count: 74
    .wavefront_size: 64
amdhsa.target:   amdgcn-amd-amdhsa--gfx906
amdhsa.version:
  - 1
  - 2
...

	.end_amdgpu_metadata
